;; amdgpu-corpus repo=pytorch/pytorch kind=compiled arch=gfx1250 opt=O3
	.amdgcn_target "amdgcn-amd-amdhsa--gfx1250"
	.amdhsa_code_object_version 6
	.section	.text._ZN2at6native12_GLOBAL__N_135_unfold_backward_elementwise_kernelILi256ELi4EZNS1_32_unfold_backward_internal_kernelIhEEvRNS_14TensorIteratorEllllllEUliE_EEviT1_,"axG",@progbits,_ZN2at6native12_GLOBAL__N_135_unfold_backward_elementwise_kernelILi256ELi4EZNS1_32_unfold_backward_internal_kernelIhEEvRNS_14TensorIteratorEllllllEUliE_EEviT1_,comdat
	.globl	_ZN2at6native12_GLOBAL__N_135_unfold_backward_elementwise_kernelILi256ELi4EZNS1_32_unfold_backward_internal_kernelIhEEvRNS_14TensorIteratorEllllllEUliE_EEviT1_ ; -- Begin function _ZN2at6native12_GLOBAL__N_135_unfold_backward_elementwise_kernelILi256ELi4EZNS1_32_unfold_backward_internal_kernelIhEEvRNS_14TensorIteratorEllllllEUliE_EEviT1_
	.p2align	8
	.type	_ZN2at6native12_GLOBAL__N_135_unfold_backward_elementwise_kernelILi256ELi4EZNS1_32_unfold_backward_internal_kernelIhEEvRNS_14TensorIteratorEllllllEUliE_EEviT1_,@function
_ZN2at6native12_GLOBAL__N_135_unfold_backward_elementwise_kernelILi256ELi4EZNS1_32_unfold_backward_internal_kernelIhEEvRNS_14TensorIteratorEllllllEUliE_EEviT1_: ; @_ZN2at6native12_GLOBAL__N_135_unfold_backward_elementwise_kernelILi256ELi4EZNS1_32_unfold_backward_internal_kernelIhEEvRNS_14TensorIteratorEllllllEUliE_EEviT1_
; %bb.0:
	s_clause 0x2
	s_load_b128 s[20:23], s[0:1], 0x8
	s_load_b32 s31, s[0:1], 0x0
	s_load_b512 s[4:19], s[0:1], 0x190
	s_bfe_u32 s3, ttmp6, 0x4000c
	s_clause 0x2
	s_load_b96 s[28:30], s[0:1], 0x18
	s_load_b128 s[24:27], s[0:1], 0xcc
	s_load_b64 s[34:35], s[0:1], 0xdc
	s_add_co_i32 s3, s3, 1
	s_and_b32 s2, ttmp6, 15
	s_mul_i32 s3, ttmp9, s3
	s_getreg_b32 s33, hwreg(HW_REG_IB_STS2, 6, 4)
	s_add_co_i32 s2, s2, s3
	s_add_nc_u64 s[40:41], s[0:1], 8
	s_cmp_eq_u32 s33, 0
	s_mov_b32 s37, 0
	s_cselect_b32 s2, ttmp9, s2
	s_mov_b32 s42, -1
	v_lshl_or_b32 v0, s2, 10, v0
	s_mov_b32 s39, s37
	s_wait_kmcnt 0x0
	v_sub_co_u32 v1, s3, s20, 1
	s_mov_b32 s36, s22
	s_xor_b32 s33, s3, -1
	s_mov_b32 s38, s29
	v_readfirstlane_b32 s1, v1
	v_cmp_lt_u32_e32 vcc_lo, 1, v1
	s_add_nc_u64 s[2:3], s[14:15], -1
	s_mov_b32 s29, exec_lo
	s_min_u32 s22, s1, 15
	v_cndmask_b32_e64 v14, 0, 1, vcc_lo
	s_cmp_gt_u32 s20, 1
	s_cselect_b32 s20, -1, 0
	v_cmpx_gt_i32_e64 s31, v0
	s_cbranch_execnz .LBB0_4
; %bb.1:
	s_or_b32 exec_lo, exec_lo, s29
	s_delay_alu instid0(SALU_CYCLE_1)
	s_mov_b32 s29, exec_lo
	v_cmpx_gt_i32_e64 s31, v0
	s_cbranch_execnz .LBB0_28
.LBB0_2:
	s_or_b32 exec_lo, exec_lo, s29
	s_delay_alu instid0(SALU_CYCLE_1)
	s_mov_b32 s29, exec_lo
	v_cmpx_gt_i32_e64 s31, v0
	s_cbranch_execnz .LBB0_52
.LBB0_3:
	s_or_b32 exec_lo, exec_lo, s29
	s_delay_alu instid0(SALU_CYCLE_1)
	s_mov_b32 s0, exec_lo
	v_cmpx_gt_i32_e64 s31, v0
	s_cbranch_execnz .LBB0_76
	s_branch .LBB0_99
.LBB0_4:
	s_and_not1_b32 vcc_lo, exec_lo, vcc_lo
                                        ; implicit-def: $vgpr3
                                        ; implicit-def: $vgpr4
                                        ; implicit-def: $vgpr2
	s_cbranch_vccnz .LBB0_11
; %bb.5:
	v_dual_mov_b32 v3, 0 :: v_dual_mov_b32 v4, 0
	v_mov_b32_e32 v2, 0
	s_and_not1_b32 vcc_lo, exec_lo, s33
	s_cbranch_vccnz .LBB0_10
; %bb.6:
	v_dual_mov_b32 v2, 0 :: v_dual_mov_b32 v1, v0
	v_dual_mov_b32 v4, 0 :: v_dual_mov_b32 v3, 0
	s_add_co_i32 s14, s22, 1
	s_mov_b64 s[0:1], 0xffffffffffffffe8
	s_and_b32 s14, s14, 30
	s_add_nc_u64 s[0:1], s[40:41], s[0:1]
.LBB0_7:                                ; =>This Inner Loop Header: Depth=1
	s_clause 0x1
	s_load_b128 s[44:47], s[0:1], 0x1c
	s_load_b64 s[42:43], s[0:1], 0x2c
	s_add_co_i32 s14, s14, -2
	s_delay_alu instid0(SALU_CYCLE_1) | instskip(SKIP_2) | instid1(VALU_DEP_1)
	s_cmp_lg_u32 s14, 0
	s_wait_kmcnt 0x0
	v_mul_hi_u32 v5, s45, v1
	v_add_nc_u32_e32 v5, v1, v5
	s_delay_alu instid0(VALU_DEP_1) | instskip(NEXT) | instid1(VALU_DEP_1)
	v_lshrrev_b32_e32 v5, s46, v5
	v_mul_hi_u32 v6, s42, v5
	v_mul_lo_u32 v7, v5, s44
	s_clause 0x1
	s_load_b128 s[48:51], s[0:1], 0xdc
	s_load_b64 s[44:45], s[0:1], 0xec
	s_wait_xcnt 0x0
	s_add_nc_u64 s[0:1], s[0:1], 24
	s_delay_alu instid0(VALU_DEP_2) | instskip(NEXT) | instid1(VALU_DEP_1)
	v_add_nc_u32_e32 v6, v5, v6
	v_dual_sub_nc_u32 v7, v1, v7 :: v_dual_lshrrev_b32 v1, s43, v6
	s_wait_kmcnt 0x0
	s_delay_alu instid0(VALU_DEP_1) | instskip(NEXT) | instid1(VALU_DEP_2)
	v_mad_u32 v2, v7, s48, v2
	v_mul_lo_u32 v6, v1, s47
	v_mad_u32 v3, v7, s50, v3
	v_mad_u32 v4, v7, s49, v4
	s_delay_alu instid0(VALU_DEP_3) | instskip(NEXT) | instid1(VALU_DEP_1)
	v_sub_nc_u32_e32 v5, v5, v6
	v_mad_u32 v2, v5, s51, v2
	s_delay_alu instid0(VALU_DEP_4) | instskip(NEXT) | instid1(VALU_DEP_4)
	v_mad_u32 v3, v5, s45, v3
	v_mad_u32 v4, v5, s44, v4
	s_cbranch_scc1 .LBB0_7
; %bb.8:
	s_bitcmp1_b32 s22, 0
	s_cselect_b32 s14, -1, 0
	s_delay_alu instid0(SALU_CYCLE_1)
	s_and_b32 vcc_lo, exec_lo, s14
	s_cbranch_vccnz .LBB0_10
; %bb.9:
	s_clause 0x1
	s_load_b96 s[44:46], s[0:1], 0x1c
	s_load_b96 s[48:50], s[0:1], 0xdc
	s_wait_kmcnt 0x0
	v_mul_hi_u32 v5, s45, v1
	s_delay_alu instid0(VALU_DEP_1) | instskip(NEXT) | instid1(VALU_DEP_1)
	v_add_nc_u32_e32 v5, v1, v5
	v_lshrrev_b32_e32 v5, s46, v5
	s_delay_alu instid0(VALU_DEP_1) | instskip(NEXT) | instid1(VALU_DEP_1)
	v_mul_lo_u32 v5, v5, s44
	v_sub_nc_u32_e32 v1, v1, v5
	s_delay_alu instid0(VALU_DEP_1)
	v_mad_u32 v2, v1, s48, v2
	v_mad_u32 v4, v1, s49, v4
	;; [unrolled: 1-line block ×3, first 2 shown]
.LBB0_10:
	s_mov_b32 s42, 0
.LBB0_11:
	s_delay_alu instid0(SALU_CYCLE_1)
	s_and_not1_b32 vcc_lo, exec_lo, s42
	s_cbranch_vccnz .LBB0_14
; %bb.12:
	v_mov_b32_e32 v1, 0
	s_and_not1_b32 vcc_lo, exec_lo, s20
	s_delay_alu instid0(VALU_DEP_1) | instskip(NEXT) | instid1(VALU_DEP_1)
	v_mul_u64_e32 v[2:3], s[36:37], v[0:1]
	v_add_nc_u32_e32 v2, v0, v3
	s_delay_alu instid0(VALU_DEP_1) | instskip(NEXT) | instid1(VALU_DEP_1)
	v_lshrrev_b32_e32 v6, s23, v2
	v_mul_lo_u32 v2, v6, s21
	s_delay_alu instid0(VALU_DEP_1) | instskip(NEXT) | instid1(VALU_DEP_1)
	v_sub_nc_u32_e32 v4, v0, v2
	v_mul_lo_u32 v2, v4, s24
	v_mul_lo_u32 v3, v4, s26
	;; [unrolled: 1-line block ×3, first 2 shown]
	s_cbranch_vccnz .LBB0_14
; %bb.13:
	v_mov_b32_e32 v7, v1
	s_delay_alu instid0(VALU_DEP_1) | instskip(NEXT) | instid1(VALU_DEP_1)
	v_mul_u64_e32 v[8:9], s[38:39], v[6:7]
	v_add_nc_u32_e32 v1, v6, v9
	s_delay_alu instid0(VALU_DEP_1) | instskip(NEXT) | instid1(VALU_DEP_1)
	v_lshrrev_b32_e32 v1, s30, v1
	v_mul_lo_u32 v1, v1, s28
	s_delay_alu instid0(VALU_DEP_1) | instskip(NEXT) | instid1(VALU_DEP_1)
	v_sub_nc_u32_e32 v1, v6, v1
	v_mad_u32 v2, v1, s27, v2
	v_mad_u32 v4, v1, s34, v4
	;; [unrolled: 1-line block ×3, first 2 shown]
.LBB0_14:
	global_load_b64 v[6:7], v3, s[8:9]
	v_mov_b64_e32 v[8:9], 0
	s_mov_b32 s1, exec_lo
	s_wait_loadcnt 0x0
	v_cmpx_lt_i64_e64 s[10:11], v[6:7]
	s_cbranch_execz .LBB0_20
; %bb.15:
	v_sub_nc_u64_e64 v[12:13], v[6:7], s[10:11]
                                        ; implicit-def: $vgpr8_vgpr9
	s_mov_b32 s0, exec_lo
	s_delay_alu instid0(VALU_DEP_1) | instskip(NEXT) | instid1(VALU_DEP_1)
	v_dual_mov_b32 v10, 0 :: v_dual_bitop2_b32 v11, s13, v13 bitop3:0x54
	v_cmpx_ne_u64_e32 0, v[10:11]
	s_xor_b32 s44, exec_lo, s0
	s_cbranch_execz .LBB0_17
; %bb.16:
	s_ashr_i32 s14, s13, 31
	s_mov_b32 s53, 0
	s_mov_b32 s15, s14
	v_dual_mov_b32 v17, v10 :: v_dual_ashrrev_i32 v8, 31, v13
	s_add_nc_u64 s[42:43], s[12:13], s[14:15]
	v_mov_b32_e32 v19, v10
	s_xor_b64 s[42:43], s[42:43], s[14:15]
	s_delay_alu instid0(VALU_DEP_2)
	v_mov_b32_e32 v9, v8
	s_cvt_f32_u32 s0, s42
	s_cvt_f32_u32 s15, s43
	s_sub_nc_u64 s[48:49], 0, s[42:43]
	v_mov_b32_e32 v25, v10
	v_add_nc_u64_e32 v[12:13], v[12:13], v[8:9]
	s_fmamk_f32 s0, s15, 0x4f800000, s0
	v_mov_b32_e32 v11, v10
	s_delay_alu instid0(SALU_CYCLE_2) | instskip(NEXT) | instid1(VALU_DEP_2)
	v_s_rcp_f32 s0, s0
	v_xor_b32_e32 v16, v12, v8
	s_delay_alu instid0(VALU_DEP_3) | instskip(SKIP_1) | instid1(TRANS32_DEP_1)
	v_xor_b32_e32 v18, v13, v8
	v_xor_b32_e32 v8, s14, v8
	s_mul_f32 s0, s0, 0x5f7ffffc
	s_delay_alu instid0(SALU_CYCLE_3) | instskip(NEXT) | instid1(SALU_CYCLE_3)
	s_mul_f32 s15, s0, 0x2f800000
	s_trunc_f32 s15, s15
	s_delay_alu instid0(SALU_CYCLE_3) | instskip(SKIP_1) | instid1(SALU_CYCLE_2)
	s_fmamk_f32 s0, s15, 0xcf800000, s0
	s_cvt_u32_f32 s47, s15
	s_cvt_u32_f32 s46, s0
	s_delay_alu instid0(SALU_CYCLE_3) | instskip(NEXT) | instid1(SALU_CYCLE_1)
	s_mul_u64 s[50:51], s[48:49], s[46:47]
	s_mul_hi_u32 s55, s46, s51
	s_mul_i32 s54, s46, s51
	s_mul_hi_u32 s52, s46, s50
	s_mul_i32 s15, s47, s50
	s_add_nc_u64 s[54:55], s[52:53], s[54:55]
	s_mul_hi_u32 s0, s47, s50
	s_mul_hi_u32 s45, s47, s51
	s_add_co_u32 s15, s54, s15
	s_add_co_ci_u32 s52, s55, s0
	s_mul_i32 s50, s47, s51
	s_add_co_ci_u32 s51, s45, 0
	s_delay_alu instid0(SALU_CYCLE_1) | instskip(NEXT) | instid1(SALU_CYCLE_1)
	s_add_nc_u64 s[50:51], s[52:53], s[50:51]
	s_add_co_u32 s46, s46, s50
	s_cselect_b32 s0, -1, 0
	s_delay_alu instid0(SALU_CYCLE_1) | instskip(SKIP_1) | instid1(SALU_CYCLE_1)
	s_cmp_lg_u32 s0, 0
	s_add_co_ci_u32 s47, s47, s51
	s_mul_u64 s[48:49], s[48:49], s[46:47]
	s_delay_alu instid0(SALU_CYCLE_1)
	s_mul_hi_u32 s51, s46, s49
	s_mul_i32 s50, s46, s49
	s_mul_hi_u32 s52, s46, s48
	s_mul_i32 s15, s47, s48
	s_add_nc_u64 s[50:51], s[52:53], s[50:51]
	s_mul_hi_u32 s0, s47, s48
	s_mul_hi_u32 s45, s47, s49
	s_add_co_u32 s15, s50, s15
	s_add_co_ci_u32 s52, s51, s0
	s_mul_i32 s48, s47, s49
	s_add_co_ci_u32 s49, s45, 0
	s_delay_alu instid0(SALU_CYCLE_1) | instskip(NEXT) | instid1(SALU_CYCLE_1)
	s_add_nc_u64 s[48:49], s[52:53], s[48:49]
	s_add_co_u32 s0, s46, s48
	s_cselect_b32 s15, -1, 0
	v_mul_hi_u32 v24, v16, s0
	s_cmp_lg_u32 s15, 0
	s_add_co_ci_u32 s52, s47, s49
	s_mov_b64 s[46:47], 0xffffffff
	v_mul_u64_e32 v[20:21], s[52:53], v[16:17]
	s_and_b64 s[46:47], s[0:1], s[46:47]
	v_mul_u64_e32 v[22:23], s[52:53], v[18:19]
	v_mul_u64_e32 v[12:13], s[46:47], v[18:19]
	s_delay_alu instid0(VALU_DEP_3) | instskip(NEXT) | instid1(VALU_DEP_1)
	v_add_nc_u64_e32 v[20:21], v[24:25], v[20:21]
	v_add_co_u32 v1, vcc_lo, v20, v12
	s_delay_alu instid0(VALU_DEP_2) | instskip(SKIP_1) | instid1(VALU_DEP_1)
	v_add_co_ci_u32_e32 v10, vcc_lo, v21, v13, vcc_lo
	v_add_co_ci_u32_e32 v23, vcc_lo, 0, v23, vcc_lo
	v_add_nc_u64_e32 v[10:11], v[10:11], v[22:23]
	s_delay_alu instid0(VALU_DEP_1) | instskip(NEXT) | instid1(VALU_DEP_1)
	v_mul_u64_e32 v[12:13], s[42:43], v[10:11]
	v_sub_nc_u32_e32 v1, v18, v13
	s_delay_alu instid0(VALU_DEP_2) | instskip(NEXT) | instid1(VALU_DEP_1)
	v_sub_co_u32 v3, vcc_lo, v16, v12
	v_sub_co_ci_u32_e64 v9, null, v18, v13, vcc_lo
	s_delay_alu instid0(VALU_DEP_3) | instskip(NEXT) | instid1(VALU_DEP_3)
	v_subrev_co_ci_u32_e64 v1, null, s43, v1, vcc_lo
	v_sub_co_u32 v5, s0, v3, s42
	v_add_nc_u64_e32 v[16:17], 1, v[10:11]
	s_delay_alu instid0(VALU_DEP_3) | instskip(NEXT) | instid1(VALU_DEP_3)
	v_subrev_co_ci_u32_e64 v1, null, 0, v1, s0
	v_cmp_le_u32_e32 vcc_lo, s42, v5
	v_cndmask_b32_e64 v5, 0, -1, vcc_lo
	s_delay_alu instid0(VALU_DEP_3)
	v_cmp_le_u32_e32 vcc_lo, s43, v1
	v_cndmask_b32_e64 v12, 0, -1, vcc_lo
	v_cmp_le_u32_e32 vcc_lo, s42, v3
	v_cndmask_b32_e64 v3, 0, -1, vcc_lo
	;; [unrolled: 2-line block ×3, first 2 shown]
	v_cmp_eq_u32_e32 vcc_lo, s43, v1
	v_cndmask_b32_e32 v1, v12, v5, vcc_lo
	v_cmp_eq_u32_e32 vcc_lo, s43, v9
	v_add_nc_u64_e32 v[12:13], 2, v[10:11]
	v_cndmask_b32_e32 v3, v15, v3, vcc_lo
	s_delay_alu instid0(VALU_DEP_4) | instskip(NEXT) | instid1(VALU_DEP_2)
	v_cmp_ne_u32_e32 vcc_lo, 0, v1
	v_cmp_ne_u32_e64 s0, 0, v3
	s_delay_alu instid0(VALU_DEP_4) | instskip(NEXT) | instid1(VALU_DEP_1)
	v_dual_cndmask_b32 v1, v17, v13, vcc_lo :: v_dual_cndmask_b32 v3, v16, v12, vcc_lo
                                        ; implicit-def: $vgpr12_vgpr13
	v_dual_cndmask_b32 v1, v11, v1, s0 :: v_dual_cndmask_b32 v3, v10, v3, s0
	s_delay_alu instid0(VALU_DEP_1) | instskip(NEXT) | instid1(VALU_DEP_2)
	v_dual_mov_b32 v9, v8 :: v_dual_bitop2_b32 v11, v1, v8 bitop3:0x14
	v_xor_b32_e32 v10, v3, v8
	s_delay_alu instid0(VALU_DEP_1)
	v_sub_nc_u64_e32 v[8:9], v[10:11], v[8:9]
.LBB0_17:
	s_and_not1_saveexec_b32 s0, s44
	s_cbranch_execz .LBB0_19
; %bb.18:
	v_cvt_f32_u32_e32 v1, s12
	s_sub_co_i32 s14, 0, s12
	v_mov_b32_e32 v9, 0
	s_delay_alu instid0(VALU_DEP_2) | instskip(SKIP_1) | instid1(TRANS32_DEP_1)
	v_rcp_iflag_f32_e32 v1, v1
	v_nop
	v_mul_f32_e32 v1, 0x4f7ffffe, v1
	s_delay_alu instid0(VALU_DEP_1) | instskip(NEXT) | instid1(VALU_DEP_1)
	v_cvt_u32_f32_e32 v1, v1
	v_mul_lo_u32 v3, s14, v1
	s_delay_alu instid0(VALU_DEP_1) | instskip(NEXT) | instid1(VALU_DEP_1)
	v_mul_hi_u32 v3, v1, v3
	v_add_nc_u32_e32 v1, v1, v3
	s_delay_alu instid0(VALU_DEP_1) | instskip(NEXT) | instid1(VALU_DEP_1)
	v_mul_hi_u32 v1, v12, v1
	v_mul_lo_u32 v3, v1, s12
	s_delay_alu instid0(VALU_DEP_1) | instskip(NEXT) | instid1(VALU_DEP_1)
	v_sub_nc_u32_e32 v3, v12, v3
	v_subrev_nc_u32_e32 v8, s12, v3
	v_cmp_le_u32_e32 vcc_lo, s12, v3
	s_delay_alu instid0(VALU_DEP_2) | instskip(NEXT) | instid1(VALU_DEP_1)
	v_dual_add_nc_u32 v5, 1, v1 :: v_dual_cndmask_b32 v3, v3, v8, vcc_lo
	v_cndmask_b32_e32 v1, v1, v5, vcc_lo
	s_delay_alu instid0(VALU_DEP_2) | instskip(NEXT) | instid1(VALU_DEP_2)
	v_cmp_le_u32_e32 vcc_lo, s12, v3
	v_add_nc_u32_e32 v5, 1, v1
	s_delay_alu instid0(VALU_DEP_1)
	v_cndmask_b32_e32 v8, v1, v5, vcc_lo
.LBB0_19:
	s_or_b32 exec_lo, exec_lo, s0
.LBB0_20:
	s_delay_alu instid0(SALU_CYCLE_1) | instskip(SKIP_2) | instid1(VALU_DEP_1)
	s_or_b32 exec_lo, exec_lo, s1
	v_dual_mov_b32 v10, 0 :: v_dual_bitop2_b32 v11, s13, v7 bitop3:0x54
                                        ; implicit-def: $vgpr12_vgpr13
	s_mov_b32 s0, exec_lo
	v_cmpx_ne_u64_e32 0, v[10:11]
	s_xor_b32 s1, exec_lo, s0
	s_cbranch_execz .LBB0_22
; %bb.21:
	s_ashr_i32 s14, s13, 31
	s_mov_b32 s51, 0
	s_mov_b32 s15, s14
	v_dual_mov_b32 v19, v10 :: v_dual_ashrrev_i32 v12, 31, v7
	s_add_nc_u64 s[42:43], s[12:13], s[14:15]
	v_mov_b32_e32 v21, v10
	s_xor_b64 s[42:43], s[42:43], s[14:15]
	s_delay_alu instid0(VALU_DEP_2)
	v_mov_b32_e32 v13, v12
	s_cvt_f32_u32 s0, s42
	s_cvt_f32_u32 s15, s43
	s_sub_nc_u64 s[46:47], 0, s[42:43]
	v_mov_b32_e32 v27, v10
	v_add_nc_u64_e32 v[16:17], v[6:7], v[12:13]
	s_fmamk_f32 s0, s15, 0x4f800000, s0
	v_mov_b32_e32 v11, v10
	s_delay_alu instid0(SALU_CYCLE_2) | instskip(NEXT) | instid1(VALU_DEP_2)
	v_s_rcp_f32 s0, s0
	v_xor_b32_e32 v18, v16, v12
	s_delay_alu instid0(VALU_DEP_3) | instskip(SKIP_1) | instid1(TRANS32_DEP_1)
	v_xor_b32_e32 v20, v17, v12
	v_xor_b32_e32 v12, s14, v12
	s_mul_f32 s0, s0, 0x5f7ffffc
	s_delay_alu instid0(SALU_CYCLE_3) | instskip(NEXT) | instid1(SALU_CYCLE_3)
	s_mul_f32 s15, s0, 0x2f800000
	s_trunc_f32 s15, s15
	s_delay_alu instid0(SALU_CYCLE_3) | instskip(SKIP_1) | instid1(SALU_CYCLE_2)
	s_fmamk_f32 s0, s15, 0xcf800000, s0
	s_cvt_u32_f32 s45, s15
	s_cvt_u32_f32 s44, s0
	s_delay_alu instid0(SALU_CYCLE_3) | instskip(NEXT) | instid1(SALU_CYCLE_1)
	s_mul_u64 s[48:49], s[46:47], s[44:45]
	s_mul_hi_u32 s53, s44, s49
	s_mul_i32 s52, s44, s49
	s_mul_hi_u32 s50, s44, s48
	s_mul_i32 s15, s45, s48
	s_add_nc_u64 s[52:53], s[50:51], s[52:53]
	s_mul_hi_u32 s0, s45, s48
	s_mul_hi_u32 s54, s45, s49
	s_add_co_u32 s15, s52, s15
	s_add_co_ci_u32 s50, s53, s0
	s_mul_i32 s48, s45, s49
	s_add_co_ci_u32 s49, s54, 0
	s_delay_alu instid0(SALU_CYCLE_1) | instskip(NEXT) | instid1(SALU_CYCLE_1)
	s_add_nc_u64 s[48:49], s[50:51], s[48:49]
	s_add_co_u32 s44, s44, s48
	s_cselect_b32 s0, -1, 0
	s_delay_alu instid0(SALU_CYCLE_1) | instskip(SKIP_1) | instid1(SALU_CYCLE_1)
	s_cmp_lg_u32 s0, 0
	s_add_co_ci_u32 s45, s45, s49
	s_mul_u64 s[46:47], s[46:47], s[44:45]
	s_delay_alu instid0(SALU_CYCLE_1)
	s_mul_hi_u32 s49, s44, s47
	s_mul_i32 s48, s44, s47
	s_mul_hi_u32 s50, s44, s46
	s_mul_i32 s15, s45, s46
	s_add_nc_u64 s[48:49], s[50:51], s[48:49]
	s_mul_hi_u32 s0, s45, s46
	s_mul_hi_u32 s52, s45, s47
	s_add_co_u32 s15, s48, s15
	s_add_co_ci_u32 s50, s49, s0
	s_mul_i32 s46, s45, s47
	s_add_co_ci_u32 s47, s52, 0
	s_delay_alu instid0(SALU_CYCLE_1) | instskip(NEXT) | instid1(SALU_CYCLE_1)
	s_add_nc_u64 s[46:47], s[50:51], s[46:47]
	s_add_co_u32 s0, s44, s46
	s_cselect_b32 s15, -1, 0
	v_mul_hi_u32 v26, v18, s0
	s_cmp_lg_u32 s15, 0
	s_add_co_ci_u32 s50, s45, s47
	s_mov_b64 s[44:45], 0xffffffff
	v_mul_u64_e32 v[22:23], s[50:51], v[18:19]
	s_and_b64 s[44:45], s[0:1], s[44:45]
	v_mul_u64_e32 v[24:25], s[50:51], v[20:21]
	v_mul_u64_e32 v[16:17], s[44:45], v[20:21]
	s_delay_alu instid0(VALU_DEP_3) | instskip(NEXT) | instid1(VALU_DEP_1)
	v_add_nc_u64_e32 v[22:23], v[26:27], v[22:23]
	v_add_co_u32 v1, vcc_lo, v22, v16
	s_delay_alu instid0(VALU_DEP_2) | instskip(SKIP_1) | instid1(VALU_DEP_1)
	v_add_co_ci_u32_e32 v10, vcc_lo, v23, v17, vcc_lo
	v_add_co_ci_u32_e32 v25, vcc_lo, 0, v25, vcc_lo
	v_add_nc_u64_e32 v[10:11], v[10:11], v[24:25]
	s_delay_alu instid0(VALU_DEP_1) | instskip(NEXT) | instid1(VALU_DEP_1)
	v_mul_u64_e32 v[16:17], s[42:43], v[10:11]
	v_sub_nc_u32_e32 v1, v20, v17
	s_delay_alu instid0(VALU_DEP_2) | instskip(NEXT) | instid1(VALU_DEP_1)
	v_sub_co_u32 v3, vcc_lo, v18, v16
	v_sub_co_ci_u32_e64 v13, null, v20, v17, vcc_lo
	s_delay_alu instid0(VALU_DEP_3) | instskip(NEXT) | instid1(VALU_DEP_3)
	v_subrev_co_ci_u32_e64 v1, null, s43, v1, vcc_lo
	v_sub_co_u32 v5, s0, v3, s42
	v_add_nc_u64_e32 v[16:17], 2, v[10:11]
	s_delay_alu instid0(VALU_DEP_3) | instskip(NEXT) | instid1(VALU_DEP_3)
	v_subrev_co_ci_u32_e64 v1, null, 0, v1, s0
	v_cmp_le_u32_e32 vcc_lo, s42, v5
	v_add_nc_u64_e32 v[18:19], 1, v[10:11]
	v_cndmask_b32_e64 v5, 0, -1, vcc_lo
	s_delay_alu instid0(VALU_DEP_4)
	v_cmp_le_u32_e32 vcc_lo, s43, v1
	v_cndmask_b32_e64 v15, 0, -1, vcc_lo
	v_cmp_le_u32_e32 vcc_lo, s42, v3
	v_cndmask_b32_e64 v3, 0, -1, vcc_lo
	v_cmp_le_u32_e32 vcc_lo, s43, v13
	v_cndmask_b32_e64 v20, 0, -1, vcc_lo
	v_cmp_eq_u32_e32 vcc_lo, s43, v1
	v_cndmask_b32_e32 v1, v15, v5, vcc_lo
	v_cmp_eq_u32_e32 vcc_lo, s43, v13
	s_delay_alu instid0(VALU_DEP_4) | instskip(NEXT) | instid1(VALU_DEP_3)
	v_cndmask_b32_e32 v3, v20, v3, vcc_lo
	v_cmp_ne_u32_e32 vcc_lo, 0, v1
	s_delay_alu instid0(VALU_DEP_2) | instskip(SKIP_1) | instid1(VALU_DEP_1)
	v_cmp_ne_u32_e64 s0, 0, v3
	v_dual_cndmask_b32 v1, v19, v17, vcc_lo :: v_dual_cndmask_b32 v3, v18, v16, vcc_lo
	v_dual_cndmask_b32 v1, v11, v1, s0 :: v_dual_cndmask_b32 v3, v10, v3, s0
	s_delay_alu instid0(VALU_DEP_1) | instskip(NEXT) | instid1(VALU_DEP_2)
	v_dual_mov_b32 v13, v12 :: v_dual_bitop2_b32 v11, v1, v12 bitop3:0x14
	v_xor_b32_e32 v10, v3, v12
	s_delay_alu instid0(VALU_DEP_1)
	v_sub_nc_u64_e32 v[12:13], v[10:11], v[12:13]
.LBB0_22:
	s_and_not1_saveexec_b32 s0, s1
	s_cbranch_execz .LBB0_24
; %bb.23:
	v_cvt_f32_u32_e32 v1, s12
	s_sub_co_i32 s1, 0, s12
	v_mov_b32_e32 v13, 0
	s_delay_alu instid0(VALU_DEP_2) | instskip(SKIP_1) | instid1(TRANS32_DEP_1)
	v_rcp_iflag_f32_e32 v1, v1
	v_nop
	v_mul_f32_e32 v1, 0x4f7ffffe, v1
	s_delay_alu instid0(VALU_DEP_1) | instskip(NEXT) | instid1(VALU_DEP_1)
	v_cvt_u32_f32_e32 v1, v1
	v_mul_lo_u32 v3, s1, v1
	s_delay_alu instid0(VALU_DEP_1) | instskip(NEXT) | instid1(VALU_DEP_1)
	v_mul_hi_u32 v3, v1, v3
	v_add_nc_u32_e32 v1, v1, v3
	s_delay_alu instid0(VALU_DEP_1) | instskip(NEXT) | instid1(VALU_DEP_1)
	v_mul_hi_u32 v1, v6, v1
	v_mul_lo_u32 v3, v1, s12
	s_delay_alu instid0(VALU_DEP_1) | instskip(NEXT) | instid1(VALU_DEP_1)
	v_sub_nc_u32_e32 v3, v6, v3
	v_subrev_nc_u32_e32 v10, s12, v3
	v_cmp_le_u32_e32 vcc_lo, s12, v3
	s_delay_alu instid0(VALU_DEP_2) | instskip(NEXT) | instid1(VALU_DEP_1)
	v_dual_add_nc_u32 v5, 1, v1 :: v_dual_cndmask_b32 v3, v3, v10, vcc_lo
	v_cndmask_b32_e32 v1, v1, v5, vcc_lo
	s_delay_alu instid0(VALU_DEP_2) | instskip(NEXT) | instid1(VALU_DEP_2)
	v_cmp_le_u32_e32 vcc_lo, s12, v3
	v_add_nc_u32_e32 v5, 1, v1
	s_delay_alu instid0(VALU_DEP_1)
	v_cndmask_b32_e32 v12, v1, v5, vcc_lo
.LBB0_24:
	s_or_b32 exec_lo, exec_lo, s0
	v_mul_u64_e32 v[16:17], s[12:13], v[8:9]
	s_delay_alu instid0(VALU_DEP_2) | instskip(SKIP_2) | instid1(VALU_DEP_2)
	v_min_i64 v[10:11], v[12:13], s[2:3]
	s_mov_b32 s14, 0
	s_mov_b32 s15, exec_lo
	v_add_nc_u64_e32 v[12:13], s[10:11], v[16:17]
	v_cmp_gt_i64_e32 vcc_lo, v[16:17], v[6:7]
	s_delay_alu instid0(VALU_DEP_2) | instskip(SKIP_2) | instid1(SALU_CYCLE_1)
	v_cmp_ge_i64_e64 s0, v[6:7], v[12:13]
	v_mov_b32_e32 v13, s14
	s_or_b32 s0, vcc_lo, s0
	v_cndmask_b32_e64 v12, 0, 1, s0
	s_delay_alu instid0(VALU_DEP_1) | instskip(NEXT) | instid1(VALU_DEP_1)
	v_add_nc_u64_e32 v[8:9], v[8:9], v[12:13]
	v_cmpx_le_i64_e64 v[8:9], v[10:11]
	s_cbranch_execz .LBB0_27
; %bb.25:
	global_load_u8 v1, v2, s[4:5]
	v_mul_u64_e32 v[12:13], s[12:13], v[8:9]
	v_mul_u64_e32 v[16:17], s[16:17], v[8:9]
	s_mul_u64 s[0:1], s[12:13], s[18:19]
	s_delay_alu instid0(SALU_CYCLE_1) | instskip(NEXT) | instid1(VALU_DEP_2)
	s_sub_nc_u64 s[0:1], s[16:17], s[0:1]
	v_sub_nc_u64_e32 v[6:7], v[6:7], v[12:13]
	s_delay_alu instid0(VALU_DEP_1) | instskip(NEXT) | instid1(VALU_DEP_1)
	v_mad_nc_u64_u32 v[12:13], s18, v6, v[16:17]
	v_mad_u32 v3, s19, v6, v13
	s_delay_alu instid0(VALU_DEP_1) | instskip(SKIP_1) | instid1(VALU_DEP_1)
	v_mad_u32 v13, s18, v7, v3
	v_mov_b32_e32 v3, 0
	v_mov_b32_e32 v5, v3
	s_wait_xcnt 0x0
	v_add_nc_u64_e32 v[2:3], s[4:5], v[2:3]
	s_delay_alu instid0(VALU_DEP_2) | instskip(SKIP_1) | instid1(VALU_DEP_2)
	v_add_nc_u64_e32 v[6:7], v[12:13], v[4:5]
	v_add_nc_u64_e32 v[4:5], -1, v[8:9]
	v_add_nc_u64_e32 v[6:7], s[6:7], v[6:7]
.LBB0_26:                               ; =>This Inner Loop Header: Depth=1
	global_load_u8 v8, v[6:7], off
	v_add_nc_u64_e32 v[4:5], 1, v[4:5]
	s_wait_xcnt 0x0
	v_add_nc_u64_e32 v[6:7], s[0:1], v[6:7]
	s_delay_alu instid0(VALU_DEP_2)
	v_cmp_ge_i64_e32 vcc_lo, v[4:5], v[10:11]
	s_or_b32 s14, vcc_lo, s14
	s_wait_loadcnt 0x0
	v_add_nc_u16 v1, v8, v1
	global_store_b8 v[2:3], v1, off
	s_wait_xcnt 0x0
	s_and_not1_b32 exec_lo, exec_lo, s14
	s_cbranch_execnz .LBB0_26
.LBB0_27:
	s_or_b32 exec_lo, exec_lo, s15
	v_add_nc_u32_e32 v0, 0x100, v0
	s_or_b32 exec_lo, exec_lo, s29
	s_delay_alu instid0(SALU_CYCLE_1) | instskip(NEXT) | instid1(VALU_DEP_1)
	s_mov_b32 s29, exec_lo
	v_cmpx_gt_i32_e64 s31, v0
	s_cbranch_execz .LBB0_2
.LBB0_28:
	v_cmp_ne_u32_e32 vcc_lo, 1, v14
	s_cbranch_vccnz .LBB0_35
; %bb.29:
	v_dual_mov_b32 v3, 0 :: v_dual_mov_b32 v4, 0
	v_mov_b32_e32 v2, 0
	s_and_not1_b32 vcc_lo, exec_lo, s33
	s_cbranch_vccnz .LBB0_34
; %bb.30:
	v_dual_mov_b32 v2, 0 :: v_dual_mov_b32 v1, v0
	v_dual_mov_b32 v4, 0 :: v_dual_mov_b32 v3, 0
	s_add_co_i32 s14, s22, 1
	s_mov_b64 s[0:1], 0xffffffffffffffe8
	s_and_b32 s14, s14, 30
	s_add_nc_u64 s[0:1], s[40:41], s[0:1]
.LBB0_31:                               ; =>This Inner Loop Header: Depth=1
	s_clause 0x1
	s_load_b128 s[44:47], s[0:1], 0x1c
	s_load_b64 s[42:43], s[0:1], 0x2c
	s_add_co_i32 s14, s14, -2
	s_delay_alu instid0(SALU_CYCLE_1) | instskip(SKIP_2) | instid1(VALU_DEP_1)
	s_cmp_eq_u32 s14, 0
	s_wait_kmcnt 0x0
	v_mul_hi_u32 v5, s45, v1
	v_add_nc_u32_e32 v5, v1, v5
	s_delay_alu instid0(VALU_DEP_1) | instskip(NEXT) | instid1(VALU_DEP_1)
	v_lshrrev_b32_e32 v5, s46, v5
	v_mul_hi_u32 v6, s42, v5
	v_mul_lo_u32 v7, v5, s44
	s_clause 0x1
	s_load_b128 s[48:51], s[0:1], 0xdc
	s_load_b64 s[44:45], s[0:1], 0xec
	s_wait_xcnt 0x0
	s_add_nc_u64 s[0:1], s[0:1], 24
	s_delay_alu instid0(VALU_DEP_2) | instskip(NEXT) | instid1(VALU_DEP_1)
	v_add_nc_u32_e32 v6, v5, v6
	v_dual_sub_nc_u32 v7, v1, v7 :: v_dual_lshrrev_b32 v1, s43, v6
	s_wait_kmcnt 0x0
	s_delay_alu instid0(VALU_DEP_1) | instskip(NEXT) | instid1(VALU_DEP_2)
	v_mad_u32 v2, v7, s48, v2
	v_mul_lo_u32 v6, v1, s47
	v_mad_u32 v3, v7, s50, v3
	v_mad_u32 v4, v7, s49, v4
	s_delay_alu instid0(VALU_DEP_3) | instskip(NEXT) | instid1(VALU_DEP_1)
	v_sub_nc_u32_e32 v5, v5, v6
	v_mad_u32 v2, v5, s51, v2
	s_delay_alu instid0(VALU_DEP_4) | instskip(NEXT) | instid1(VALU_DEP_4)
	v_mad_u32 v3, v5, s45, v3
	v_mad_u32 v4, v5, s44, v4
	s_cbranch_scc0 .LBB0_31
; %bb.32:
	s_bitcmp1_b32 s22, 0
	s_cselect_b32 s14, -1, 0
	s_delay_alu instid0(SALU_CYCLE_1)
	s_and_b32 vcc_lo, exec_lo, s14
	s_cbranch_vccnz .LBB0_34
; %bb.33:
	s_clause 0x1
	s_load_b96 s[44:46], s[0:1], 0x1c
	s_load_b96 s[48:50], s[0:1], 0xdc
	s_wait_kmcnt 0x0
	v_mul_hi_u32 v5, s45, v1
	s_delay_alu instid0(VALU_DEP_1) | instskip(NEXT) | instid1(VALU_DEP_1)
	v_add_nc_u32_e32 v5, v1, v5
	v_lshrrev_b32_e32 v5, s46, v5
	s_delay_alu instid0(VALU_DEP_1) | instskip(NEXT) | instid1(VALU_DEP_1)
	v_mul_lo_u32 v5, v5, s44
	v_sub_nc_u32_e32 v1, v1, v5
	s_delay_alu instid0(VALU_DEP_1)
	v_mad_u32 v2, v1, s48, v2
	v_mad_u32 v4, v1, s49, v4
	;; [unrolled: 1-line block ×3, first 2 shown]
.LBB0_34:
	s_cbranch_execz .LBB0_36
	s_branch .LBB0_38
.LBB0_35:
                                        ; implicit-def: $vgpr3
                                        ; implicit-def: $vgpr4
                                        ; implicit-def: $vgpr2
.LBB0_36:
	v_mov_b32_e32 v1, 0
	s_and_not1_b32 vcc_lo, exec_lo, s20
	s_delay_alu instid0(VALU_DEP_1) | instskip(NEXT) | instid1(VALU_DEP_1)
	v_mul_u64_e32 v[2:3], s[36:37], v[0:1]
	v_add_nc_u32_e32 v2, v0, v3
	s_delay_alu instid0(VALU_DEP_1) | instskip(NEXT) | instid1(VALU_DEP_1)
	v_lshrrev_b32_e32 v6, s23, v2
	v_mul_lo_u32 v2, v6, s21
	s_delay_alu instid0(VALU_DEP_1) | instskip(NEXT) | instid1(VALU_DEP_1)
	v_sub_nc_u32_e32 v4, v0, v2
	v_mul_lo_u32 v2, v4, s24
	v_mul_lo_u32 v3, v4, s26
	;; [unrolled: 1-line block ×3, first 2 shown]
	s_cbranch_vccnz .LBB0_38
; %bb.37:
	v_mov_b32_e32 v7, v1
	s_delay_alu instid0(VALU_DEP_1) | instskip(NEXT) | instid1(VALU_DEP_1)
	v_mul_u64_e32 v[8:9], s[38:39], v[6:7]
	v_add_nc_u32_e32 v1, v6, v9
	s_delay_alu instid0(VALU_DEP_1) | instskip(NEXT) | instid1(VALU_DEP_1)
	v_lshrrev_b32_e32 v1, s30, v1
	v_mul_lo_u32 v1, v1, s28
	s_delay_alu instid0(VALU_DEP_1) | instskip(NEXT) | instid1(VALU_DEP_1)
	v_sub_nc_u32_e32 v1, v6, v1
	v_mad_u32 v2, v1, s27, v2
	v_mad_u32 v4, v1, s34, v4
	;; [unrolled: 1-line block ×3, first 2 shown]
.LBB0_38:
	global_load_b64 v[6:7], v3, s[8:9]
	v_mov_b64_e32 v[8:9], 0
	s_mov_b32 s1, exec_lo
	s_wait_loadcnt 0x0
	v_cmpx_lt_i64_e64 s[10:11], v[6:7]
	s_cbranch_execz .LBB0_44
; %bb.39:
	v_sub_nc_u64_e64 v[12:13], v[6:7], s[10:11]
                                        ; implicit-def: $vgpr8_vgpr9
	s_mov_b32 s0, exec_lo
	s_delay_alu instid0(VALU_DEP_1) | instskip(NEXT) | instid1(VALU_DEP_1)
	v_dual_mov_b32 v10, 0 :: v_dual_bitop2_b32 v11, s13, v13 bitop3:0x54
	v_cmpx_ne_u64_e32 0, v[10:11]
	s_xor_b32 s44, exec_lo, s0
	s_cbranch_execz .LBB0_41
; %bb.40:
	s_ashr_i32 s14, s13, 31
	s_mov_b32 s53, 0
	s_mov_b32 s15, s14
	v_dual_mov_b32 v17, v10 :: v_dual_ashrrev_i32 v8, 31, v13
	s_add_nc_u64 s[42:43], s[12:13], s[14:15]
	v_mov_b32_e32 v19, v10
	s_xor_b64 s[42:43], s[42:43], s[14:15]
	s_delay_alu instid0(VALU_DEP_2)
	v_mov_b32_e32 v9, v8
	s_cvt_f32_u32 s0, s42
	s_cvt_f32_u32 s15, s43
	s_sub_nc_u64 s[48:49], 0, s[42:43]
	v_mov_b32_e32 v25, v10
	v_add_nc_u64_e32 v[12:13], v[12:13], v[8:9]
	s_fmamk_f32 s0, s15, 0x4f800000, s0
	v_mov_b32_e32 v11, v10
	s_delay_alu instid0(SALU_CYCLE_2) | instskip(NEXT) | instid1(VALU_DEP_2)
	v_s_rcp_f32 s0, s0
	v_xor_b32_e32 v16, v12, v8
	s_delay_alu instid0(VALU_DEP_3) | instskip(SKIP_1) | instid1(TRANS32_DEP_1)
	v_xor_b32_e32 v18, v13, v8
	v_xor_b32_e32 v8, s14, v8
	s_mul_f32 s0, s0, 0x5f7ffffc
	s_delay_alu instid0(SALU_CYCLE_3) | instskip(NEXT) | instid1(SALU_CYCLE_3)
	s_mul_f32 s15, s0, 0x2f800000
	s_trunc_f32 s15, s15
	s_delay_alu instid0(SALU_CYCLE_3) | instskip(SKIP_1) | instid1(SALU_CYCLE_2)
	s_fmamk_f32 s0, s15, 0xcf800000, s0
	s_cvt_u32_f32 s47, s15
	s_cvt_u32_f32 s46, s0
	s_delay_alu instid0(SALU_CYCLE_3) | instskip(NEXT) | instid1(SALU_CYCLE_1)
	s_mul_u64 s[50:51], s[48:49], s[46:47]
	s_mul_hi_u32 s55, s46, s51
	s_mul_i32 s54, s46, s51
	s_mul_hi_u32 s52, s46, s50
	s_mul_i32 s15, s47, s50
	s_add_nc_u64 s[54:55], s[52:53], s[54:55]
	s_mul_hi_u32 s0, s47, s50
	s_mul_hi_u32 s45, s47, s51
	s_add_co_u32 s15, s54, s15
	s_add_co_ci_u32 s52, s55, s0
	s_mul_i32 s50, s47, s51
	s_add_co_ci_u32 s51, s45, 0
	s_delay_alu instid0(SALU_CYCLE_1) | instskip(NEXT) | instid1(SALU_CYCLE_1)
	s_add_nc_u64 s[50:51], s[52:53], s[50:51]
	s_add_co_u32 s46, s46, s50
	s_cselect_b32 s0, -1, 0
	s_delay_alu instid0(SALU_CYCLE_1) | instskip(SKIP_1) | instid1(SALU_CYCLE_1)
	s_cmp_lg_u32 s0, 0
	s_add_co_ci_u32 s47, s47, s51
	s_mul_u64 s[48:49], s[48:49], s[46:47]
	s_delay_alu instid0(SALU_CYCLE_1)
	s_mul_hi_u32 s51, s46, s49
	s_mul_i32 s50, s46, s49
	s_mul_hi_u32 s52, s46, s48
	s_mul_i32 s15, s47, s48
	s_add_nc_u64 s[50:51], s[52:53], s[50:51]
	s_mul_hi_u32 s0, s47, s48
	s_mul_hi_u32 s45, s47, s49
	s_add_co_u32 s15, s50, s15
	s_add_co_ci_u32 s52, s51, s0
	s_mul_i32 s48, s47, s49
	s_add_co_ci_u32 s49, s45, 0
	s_delay_alu instid0(SALU_CYCLE_1) | instskip(NEXT) | instid1(SALU_CYCLE_1)
	s_add_nc_u64 s[48:49], s[52:53], s[48:49]
	s_add_co_u32 s0, s46, s48
	s_cselect_b32 s15, -1, 0
	v_mul_hi_u32 v24, v16, s0
	s_cmp_lg_u32 s15, 0
	s_add_co_ci_u32 s52, s47, s49
	s_mov_b64 s[46:47], 0xffffffff
	v_mul_u64_e32 v[20:21], s[52:53], v[16:17]
	s_and_b64 s[46:47], s[0:1], s[46:47]
	v_mul_u64_e32 v[22:23], s[52:53], v[18:19]
	v_mul_u64_e32 v[12:13], s[46:47], v[18:19]
	s_delay_alu instid0(VALU_DEP_3) | instskip(NEXT) | instid1(VALU_DEP_1)
	v_add_nc_u64_e32 v[20:21], v[24:25], v[20:21]
	v_add_co_u32 v1, vcc_lo, v20, v12
	s_delay_alu instid0(VALU_DEP_2) | instskip(SKIP_1) | instid1(VALU_DEP_1)
	v_add_co_ci_u32_e32 v10, vcc_lo, v21, v13, vcc_lo
	v_add_co_ci_u32_e32 v23, vcc_lo, 0, v23, vcc_lo
	v_add_nc_u64_e32 v[10:11], v[10:11], v[22:23]
	s_delay_alu instid0(VALU_DEP_1) | instskip(NEXT) | instid1(VALU_DEP_1)
	v_mul_u64_e32 v[12:13], s[42:43], v[10:11]
	v_sub_nc_u32_e32 v1, v18, v13
	s_delay_alu instid0(VALU_DEP_2) | instskip(NEXT) | instid1(VALU_DEP_1)
	v_sub_co_u32 v3, vcc_lo, v16, v12
	v_sub_co_ci_u32_e64 v9, null, v18, v13, vcc_lo
	s_delay_alu instid0(VALU_DEP_3) | instskip(NEXT) | instid1(VALU_DEP_3)
	v_subrev_co_ci_u32_e64 v1, null, s43, v1, vcc_lo
	v_sub_co_u32 v5, s0, v3, s42
	v_add_nc_u64_e32 v[16:17], 1, v[10:11]
	s_delay_alu instid0(VALU_DEP_3) | instskip(NEXT) | instid1(VALU_DEP_3)
	v_subrev_co_ci_u32_e64 v1, null, 0, v1, s0
	v_cmp_le_u32_e32 vcc_lo, s42, v5
	v_cndmask_b32_e64 v5, 0, -1, vcc_lo
	s_delay_alu instid0(VALU_DEP_3)
	v_cmp_le_u32_e32 vcc_lo, s43, v1
	v_cndmask_b32_e64 v12, 0, -1, vcc_lo
	v_cmp_le_u32_e32 vcc_lo, s42, v3
	v_cndmask_b32_e64 v3, 0, -1, vcc_lo
	;; [unrolled: 2-line block ×3, first 2 shown]
	v_cmp_eq_u32_e32 vcc_lo, s43, v1
	v_cndmask_b32_e32 v1, v12, v5, vcc_lo
	v_cmp_eq_u32_e32 vcc_lo, s43, v9
	v_add_nc_u64_e32 v[12:13], 2, v[10:11]
	v_cndmask_b32_e32 v3, v15, v3, vcc_lo
	s_delay_alu instid0(VALU_DEP_4) | instskip(NEXT) | instid1(VALU_DEP_2)
	v_cmp_ne_u32_e32 vcc_lo, 0, v1
	v_cmp_ne_u32_e64 s0, 0, v3
	s_delay_alu instid0(VALU_DEP_4) | instskip(NEXT) | instid1(VALU_DEP_1)
	v_dual_cndmask_b32 v1, v17, v13, vcc_lo :: v_dual_cndmask_b32 v3, v16, v12, vcc_lo
                                        ; implicit-def: $vgpr12_vgpr13
	v_dual_cndmask_b32 v1, v11, v1, s0 :: v_dual_cndmask_b32 v3, v10, v3, s0
	s_delay_alu instid0(VALU_DEP_1) | instskip(NEXT) | instid1(VALU_DEP_2)
	v_dual_mov_b32 v9, v8 :: v_dual_bitop2_b32 v11, v1, v8 bitop3:0x14
	v_xor_b32_e32 v10, v3, v8
	s_delay_alu instid0(VALU_DEP_1)
	v_sub_nc_u64_e32 v[8:9], v[10:11], v[8:9]
.LBB0_41:
	s_and_not1_saveexec_b32 s0, s44
	s_cbranch_execz .LBB0_43
; %bb.42:
	v_cvt_f32_u32_e32 v1, s12
	s_sub_co_i32 s14, 0, s12
	v_mov_b32_e32 v9, 0
	s_delay_alu instid0(VALU_DEP_2) | instskip(SKIP_1) | instid1(TRANS32_DEP_1)
	v_rcp_iflag_f32_e32 v1, v1
	v_nop
	v_mul_f32_e32 v1, 0x4f7ffffe, v1
	s_delay_alu instid0(VALU_DEP_1) | instskip(NEXT) | instid1(VALU_DEP_1)
	v_cvt_u32_f32_e32 v1, v1
	v_mul_lo_u32 v3, s14, v1
	s_delay_alu instid0(VALU_DEP_1) | instskip(NEXT) | instid1(VALU_DEP_1)
	v_mul_hi_u32 v3, v1, v3
	v_add_nc_u32_e32 v1, v1, v3
	s_delay_alu instid0(VALU_DEP_1) | instskip(NEXT) | instid1(VALU_DEP_1)
	v_mul_hi_u32 v1, v12, v1
	v_mul_lo_u32 v3, v1, s12
	s_delay_alu instid0(VALU_DEP_1) | instskip(NEXT) | instid1(VALU_DEP_1)
	v_sub_nc_u32_e32 v3, v12, v3
	v_subrev_nc_u32_e32 v8, s12, v3
	v_cmp_le_u32_e32 vcc_lo, s12, v3
	s_delay_alu instid0(VALU_DEP_2) | instskip(NEXT) | instid1(VALU_DEP_1)
	v_dual_add_nc_u32 v5, 1, v1 :: v_dual_cndmask_b32 v3, v3, v8, vcc_lo
	v_cndmask_b32_e32 v1, v1, v5, vcc_lo
	s_delay_alu instid0(VALU_DEP_2) | instskip(NEXT) | instid1(VALU_DEP_2)
	v_cmp_le_u32_e32 vcc_lo, s12, v3
	v_add_nc_u32_e32 v5, 1, v1
	s_delay_alu instid0(VALU_DEP_1)
	v_cndmask_b32_e32 v8, v1, v5, vcc_lo
.LBB0_43:
	s_or_b32 exec_lo, exec_lo, s0
.LBB0_44:
	s_delay_alu instid0(SALU_CYCLE_1) | instskip(SKIP_2) | instid1(VALU_DEP_1)
	s_or_b32 exec_lo, exec_lo, s1
	v_dual_mov_b32 v10, 0 :: v_dual_bitop2_b32 v11, s13, v7 bitop3:0x54
                                        ; implicit-def: $vgpr12_vgpr13
	s_mov_b32 s0, exec_lo
	v_cmpx_ne_u64_e32 0, v[10:11]
	s_xor_b32 s1, exec_lo, s0
	s_cbranch_execz .LBB0_46
; %bb.45:
	s_ashr_i32 s14, s13, 31
	s_mov_b32 s51, 0
	s_mov_b32 s15, s14
	v_dual_mov_b32 v19, v10 :: v_dual_ashrrev_i32 v12, 31, v7
	s_add_nc_u64 s[42:43], s[12:13], s[14:15]
	v_mov_b32_e32 v21, v10
	s_xor_b64 s[42:43], s[42:43], s[14:15]
	s_delay_alu instid0(VALU_DEP_2)
	v_mov_b32_e32 v13, v12
	s_cvt_f32_u32 s0, s42
	s_cvt_f32_u32 s15, s43
	s_sub_nc_u64 s[46:47], 0, s[42:43]
	v_mov_b32_e32 v27, v10
	v_add_nc_u64_e32 v[16:17], v[6:7], v[12:13]
	s_fmamk_f32 s0, s15, 0x4f800000, s0
	v_mov_b32_e32 v11, v10
	s_delay_alu instid0(SALU_CYCLE_2) | instskip(NEXT) | instid1(VALU_DEP_2)
	v_s_rcp_f32 s0, s0
	v_xor_b32_e32 v18, v16, v12
	s_delay_alu instid0(VALU_DEP_3) | instskip(SKIP_1) | instid1(TRANS32_DEP_1)
	v_xor_b32_e32 v20, v17, v12
	v_xor_b32_e32 v12, s14, v12
	s_mul_f32 s0, s0, 0x5f7ffffc
	s_delay_alu instid0(SALU_CYCLE_3) | instskip(NEXT) | instid1(SALU_CYCLE_3)
	s_mul_f32 s15, s0, 0x2f800000
	s_trunc_f32 s15, s15
	s_delay_alu instid0(SALU_CYCLE_3) | instskip(SKIP_1) | instid1(SALU_CYCLE_2)
	s_fmamk_f32 s0, s15, 0xcf800000, s0
	s_cvt_u32_f32 s45, s15
	s_cvt_u32_f32 s44, s0
	s_delay_alu instid0(SALU_CYCLE_3) | instskip(NEXT) | instid1(SALU_CYCLE_1)
	s_mul_u64 s[48:49], s[46:47], s[44:45]
	s_mul_hi_u32 s53, s44, s49
	s_mul_i32 s52, s44, s49
	s_mul_hi_u32 s50, s44, s48
	s_mul_i32 s15, s45, s48
	s_add_nc_u64 s[52:53], s[50:51], s[52:53]
	s_mul_hi_u32 s0, s45, s48
	s_mul_hi_u32 s54, s45, s49
	s_add_co_u32 s15, s52, s15
	s_add_co_ci_u32 s50, s53, s0
	s_mul_i32 s48, s45, s49
	s_add_co_ci_u32 s49, s54, 0
	s_delay_alu instid0(SALU_CYCLE_1) | instskip(NEXT) | instid1(SALU_CYCLE_1)
	s_add_nc_u64 s[48:49], s[50:51], s[48:49]
	s_add_co_u32 s44, s44, s48
	s_cselect_b32 s0, -1, 0
	s_delay_alu instid0(SALU_CYCLE_1) | instskip(SKIP_1) | instid1(SALU_CYCLE_1)
	s_cmp_lg_u32 s0, 0
	s_add_co_ci_u32 s45, s45, s49
	s_mul_u64 s[46:47], s[46:47], s[44:45]
	s_delay_alu instid0(SALU_CYCLE_1)
	s_mul_hi_u32 s49, s44, s47
	s_mul_i32 s48, s44, s47
	s_mul_hi_u32 s50, s44, s46
	s_mul_i32 s15, s45, s46
	s_add_nc_u64 s[48:49], s[50:51], s[48:49]
	s_mul_hi_u32 s0, s45, s46
	s_mul_hi_u32 s52, s45, s47
	s_add_co_u32 s15, s48, s15
	s_add_co_ci_u32 s50, s49, s0
	s_mul_i32 s46, s45, s47
	s_add_co_ci_u32 s47, s52, 0
	s_delay_alu instid0(SALU_CYCLE_1) | instskip(NEXT) | instid1(SALU_CYCLE_1)
	s_add_nc_u64 s[46:47], s[50:51], s[46:47]
	s_add_co_u32 s0, s44, s46
	s_cselect_b32 s15, -1, 0
	v_mul_hi_u32 v26, v18, s0
	s_cmp_lg_u32 s15, 0
	s_add_co_ci_u32 s50, s45, s47
	s_mov_b64 s[44:45], 0xffffffff
	v_mul_u64_e32 v[22:23], s[50:51], v[18:19]
	s_and_b64 s[44:45], s[0:1], s[44:45]
	v_mul_u64_e32 v[24:25], s[50:51], v[20:21]
	v_mul_u64_e32 v[16:17], s[44:45], v[20:21]
	s_delay_alu instid0(VALU_DEP_3) | instskip(NEXT) | instid1(VALU_DEP_1)
	v_add_nc_u64_e32 v[22:23], v[26:27], v[22:23]
	v_add_co_u32 v1, vcc_lo, v22, v16
	s_delay_alu instid0(VALU_DEP_2) | instskip(SKIP_1) | instid1(VALU_DEP_1)
	v_add_co_ci_u32_e32 v10, vcc_lo, v23, v17, vcc_lo
	v_add_co_ci_u32_e32 v25, vcc_lo, 0, v25, vcc_lo
	v_add_nc_u64_e32 v[10:11], v[10:11], v[24:25]
	s_delay_alu instid0(VALU_DEP_1) | instskip(NEXT) | instid1(VALU_DEP_1)
	v_mul_u64_e32 v[16:17], s[42:43], v[10:11]
	v_sub_nc_u32_e32 v1, v20, v17
	s_delay_alu instid0(VALU_DEP_2) | instskip(NEXT) | instid1(VALU_DEP_1)
	v_sub_co_u32 v3, vcc_lo, v18, v16
	v_sub_co_ci_u32_e64 v13, null, v20, v17, vcc_lo
	s_delay_alu instid0(VALU_DEP_3) | instskip(NEXT) | instid1(VALU_DEP_3)
	v_subrev_co_ci_u32_e64 v1, null, s43, v1, vcc_lo
	v_sub_co_u32 v5, s0, v3, s42
	v_add_nc_u64_e32 v[16:17], 2, v[10:11]
	s_delay_alu instid0(VALU_DEP_3) | instskip(NEXT) | instid1(VALU_DEP_3)
	v_subrev_co_ci_u32_e64 v1, null, 0, v1, s0
	v_cmp_le_u32_e32 vcc_lo, s42, v5
	v_add_nc_u64_e32 v[18:19], 1, v[10:11]
	v_cndmask_b32_e64 v5, 0, -1, vcc_lo
	s_delay_alu instid0(VALU_DEP_4)
	v_cmp_le_u32_e32 vcc_lo, s43, v1
	v_cndmask_b32_e64 v15, 0, -1, vcc_lo
	v_cmp_le_u32_e32 vcc_lo, s42, v3
	v_cndmask_b32_e64 v3, 0, -1, vcc_lo
	;; [unrolled: 2-line block ×3, first 2 shown]
	v_cmp_eq_u32_e32 vcc_lo, s43, v1
	v_cndmask_b32_e32 v1, v15, v5, vcc_lo
	v_cmp_eq_u32_e32 vcc_lo, s43, v13
	s_delay_alu instid0(VALU_DEP_4) | instskip(NEXT) | instid1(VALU_DEP_3)
	v_cndmask_b32_e32 v3, v20, v3, vcc_lo
	v_cmp_ne_u32_e32 vcc_lo, 0, v1
	s_delay_alu instid0(VALU_DEP_2) | instskip(SKIP_1) | instid1(VALU_DEP_1)
	v_cmp_ne_u32_e64 s0, 0, v3
	v_dual_cndmask_b32 v1, v19, v17, vcc_lo :: v_dual_cndmask_b32 v3, v18, v16, vcc_lo
	v_dual_cndmask_b32 v1, v11, v1, s0 :: v_dual_cndmask_b32 v3, v10, v3, s0
	s_delay_alu instid0(VALU_DEP_1) | instskip(NEXT) | instid1(VALU_DEP_2)
	v_dual_mov_b32 v13, v12 :: v_dual_bitop2_b32 v11, v1, v12 bitop3:0x14
	v_xor_b32_e32 v10, v3, v12
	s_delay_alu instid0(VALU_DEP_1)
	v_sub_nc_u64_e32 v[12:13], v[10:11], v[12:13]
.LBB0_46:
	s_and_not1_saveexec_b32 s0, s1
	s_cbranch_execz .LBB0_48
; %bb.47:
	v_cvt_f32_u32_e32 v1, s12
	s_sub_co_i32 s1, 0, s12
	v_mov_b32_e32 v13, 0
	s_delay_alu instid0(VALU_DEP_2) | instskip(SKIP_1) | instid1(TRANS32_DEP_1)
	v_rcp_iflag_f32_e32 v1, v1
	v_nop
	v_mul_f32_e32 v1, 0x4f7ffffe, v1
	s_delay_alu instid0(VALU_DEP_1) | instskip(NEXT) | instid1(VALU_DEP_1)
	v_cvt_u32_f32_e32 v1, v1
	v_mul_lo_u32 v3, s1, v1
	s_delay_alu instid0(VALU_DEP_1) | instskip(NEXT) | instid1(VALU_DEP_1)
	v_mul_hi_u32 v3, v1, v3
	v_add_nc_u32_e32 v1, v1, v3
	s_delay_alu instid0(VALU_DEP_1) | instskip(NEXT) | instid1(VALU_DEP_1)
	v_mul_hi_u32 v1, v6, v1
	v_mul_lo_u32 v3, v1, s12
	s_delay_alu instid0(VALU_DEP_1) | instskip(NEXT) | instid1(VALU_DEP_1)
	v_sub_nc_u32_e32 v3, v6, v3
	v_subrev_nc_u32_e32 v10, s12, v3
	v_cmp_le_u32_e32 vcc_lo, s12, v3
	s_delay_alu instid0(VALU_DEP_2) | instskip(NEXT) | instid1(VALU_DEP_1)
	v_dual_add_nc_u32 v5, 1, v1 :: v_dual_cndmask_b32 v3, v3, v10, vcc_lo
	v_cndmask_b32_e32 v1, v1, v5, vcc_lo
	s_delay_alu instid0(VALU_DEP_2) | instskip(NEXT) | instid1(VALU_DEP_2)
	v_cmp_le_u32_e32 vcc_lo, s12, v3
	v_add_nc_u32_e32 v5, 1, v1
	s_delay_alu instid0(VALU_DEP_1)
	v_cndmask_b32_e32 v12, v1, v5, vcc_lo
.LBB0_48:
	s_or_b32 exec_lo, exec_lo, s0
	v_mul_u64_e32 v[16:17], s[12:13], v[8:9]
	s_delay_alu instid0(VALU_DEP_2) | instskip(SKIP_2) | instid1(VALU_DEP_2)
	v_min_i64 v[10:11], v[12:13], s[2:3]
	s_mov_b32 s14, 0
	s_mov_b32 s15, exec_lo
	v_add_nc_u64_e32 v[12:13], s[10:11], v[16:17]
	v_cmp_gt_i64_e32 vcc_lo, v[16:17], v[6:7]
	s_delay_alu instid0(VALU_DEP_2) | instskip(SKIP_2) | instid1(SALU_CYCLE_1)
	v_cmp_ge_i64_e64 s0, v[6:7], v[12:13]
	v_mov_b32_e32 v13, s14
	s_or_b32 s0, vcc_lo, s0
	v_cndmask_b32_e64 v12, 0, 1, s0
	s_delay_alu instid0(VALU_DEP_1) | instskip(NEXT) | instid1(VALU_DEP_1)
	v_add_nc_u64_e32 v[8:9], v[8:9], v[12:13]
	v_cmpx_le_i64_e64 v[8:9], v[10:11]
	s_cbranch_execz .LBB0_51
; %bb.49:
	global_load_u8 v1, v2, s[4:5]
	v_mul_u64_e32 v[12:13], s[12:13], v[8:9]
	v_mul_u64_e32 v[16:17], s[16:17], v[8:9]
	s_mul_u64 s[0:1], s[12:13], s[18:19]
	s_delay_alu instid0(SALU_CYCLE_1) | instskip(NEXT) | instid1(VALU_DEP_2)
	s_sub_nc_u64 s[0:1], s[16:17], s[0:1]
	v_sub_nc_u64_e32 v[6:7], v[6:7], v[12:13]
	s_delay_alu instid0(VALU_DEP_1) | instskip(NEXT) | instid1(VALU_DEP_1)
	v_mad_nc_u64_u32 v[12:13], s18, v6, v[16:17]
	v_mad_u32 v3, s19, v6, v13
	s_delay_alu instid0(VALU_DEP_1) | instskip(SKIP_1) | instid1(VALU_DEP_1)
	v_mad_u32 v13, s18, v7, v3
	v_mov_b32_e32 v3, 0
	v_mov_b32_e32 v5, v3
	s_wait_xcnt 0x0
	v_add_nc_u64_e32 v[2:3], s[4:5], v[2:3]
	s_delay_alu instid0(VALU_DEP_2) | instskip(SKIP_1) | instid1(VALU_DEP_2)
	v_add_nc_u64_e32 v[6:7], v[12:13], v[4:5]
	v_add_nc_u64_e32 v[4:5], -1, v[8:9]
	v_add_nc_u64_e32 v[6:7], s[6:7], v[6:7]
.LBB0_50:                               ; =>This Inner Loop Header: Depth=1
	global_load_u8 v8, v[6:7], off
	v_add_nc_u64_e32 v[4:5], 1, v[4:5]
	s_wait_xcnt 0x0
	v_add_nc_u64_e32 v[6:7], s[0:1], v[6:7]
	s_delay_alu instid0(VALU_DEP_2)
	v_cmp_ge_i64_e32 vcc_lo, v[4:5], v[10:11]
	s_or_b32 s14, vcc_lo, s14
	s_wait_loadcnt 0x0
	v_add_nc_u16 v1, v8, v1
	global_store_b8 v[2:3], v1, off
	s_wait_xcnt 0x0
	s_and_not1_b32 exec_lo, exec_lo, s14
	s_cbranch_execnz .LBB0_50
.LBB0_51:
	s_or_b32 exec_lo, exec_lo, s15
	v_add_nc_u32_e32 v0, 0x100, v0
	s_or_b32 exec_lo, exec_lo, s29
	s_delay_alu instid0(SALU_CYCLE_1) | instskip(NEXT) | instid1(VALU_DEP_1)
	s_mov_b32 s29, exec_lo
	v_cmpx_gt_i32_e64 s31, v0
	s_cbranch_execz .LBB0_3
.LBB0_52:
	v_cmp_ne_u32_e32 vcc_lo, 1, v14
	s_cbranch_vccnz .LBB0_59
; %bb.53:
	v_dual_mov_b32 v3, 0 :: v_dual_mov_b32 v4, 0
	v_mov_b32_e32 v2, 0
	s_and_not1_b32 vcc_lo, exec_lo, s33
	s_cbranch_vccnz .LBB0_58
; %bb.54:
	v_dual_mov_b32 v2, 0 :: v_dual_mov_b32 v1, v0
	v_dual_mov_b32 v4, 0 :: v_dual_mov_b32 v3, 0
	s_add_co_i32 s14, s22, 1
	s_mov_b64 s[0:1], 0xffffffffffffffe8
	s_and_b32 s14, s14, 30
	s_add_nc_u64 s[0:1], s[40:41], s[0:1]
.LBB0_55:                               ; =>This Inner Loop Header: Depth=1
	s_clause 0x1
	s_load_b128 s[44:47], s[0:1], 0x1c
	s_load_b64 s[42:43], s[0:1], 0x2c
	s_add_co_i32 s14, s14, -2
	s_delay_alu instid0(SALU_CYCLE_1) | instskip(SKIP_2) | instid1(VALU_DEP_1)
	s_cmp_eq_u32 s14, 0
	s_wait_kmcnt 0x0
	v_mul_hi_u32 v5, s45, v1
	v_add_nc_u32_e32 v5, v1, v5
	s_delay_alu instid0(VALU_DEP_1) | instskip(NEXT) | instid1(VALU_DEP_1)
	v_lshrrev_b32_e32 v5, s46, v5
	v_mul_hi_u32 v6, s42, v5
	v_mul_lo_u32 v7, v5, s44
	s_clause 0x1
	s_load_b128 s[48:51], s[0:1], 0xdc
	s_load_b64 s[44:45], s[0:1], 0xec
	s_wait_xcnt 0x0
	s_add_nc_u64 s[0:1], s[0:1], 24
	s_delay_alu instid0(VALU_DEP_2) | instskip(NEXT) | instid1(VALU_DEP_1)
	v_add_nc_u32_e32 v6, v5, v6
	v_dual_sub_nc_u32 v7, v1, v7 :: v_dual_lshrrev_b32 v1, s43, v6
	s_wait_kmcnt 0x0
	s_delay_alu instid0(VALU_DEP_1) | instskip(NEXT) | instid1(VALU_DEP_2)
	v_mad_u32 v2, v7, s48, v2
	v_mul_lo_u32 v6, v1, s47
	v_mad_u32 v3, v7, s50, v3
	v_mad_u32 v4, v7, s49, v4
	s_delay_alu instid0(VALU_DEP_3) | instskip(NEXT) | instid1(VALU_DEP_1)
	v_sub_nc_u32_e32 v5, v5, v6
	v_mad_u32 v2, v5, s51, v2
	s_delay_alu instid0(VALU_DEP_4) | instskip(NEXT) | instid1(VALU_DEP_4)
	v_mad_u32 v3, v5, s45, v3
	v_mad_u32 v4, v5, s44, v4
	s_cbranch_scc0 .LBB0_55
; %bb.56:
	s_bitcmp1_b32 s22, 0
	s_cselect_b32 s14, -1, 0
	s_delay_alu instid0(SALU_CYCLE_1)
	s_and_b32 vcc_lo, exec_lo, s14
	s_cbranch_vccnz .LBB0_58
; %bb.57:
	s_clause 0x1
	s_load_b96 s[44:46], s[0:1], 0x1c
	s_load_b96 s[48:50], s[0:1], 0xdc
	s_wait_kmcnt 0x0
	v_mul_hi_u32 v5, s45, v1
	s_delay_alu instid0(VALU_DEP_1) | instskip(NEXT) | instid1(VALU_DEP_1)
	v_add_nc_u32_e32 v5, v1, v5
	v_lshrrev_b32_e32 v5, s46, v5
	s_delay_alu instid0(VALU_DEP_1) | instskip(NEXT) | instid1(VALU_DEP_1)
	v_mul_lo_u32 v5, v5, s44
	v_sub_nc_u32_e32 v1, v1, v5
	s_delay_alu instid0(VALU_DEP_1)
	v_mad_u32 v2, v1, s48, v2
	v_mad_u32 v4, v1, s49, v4
	;; [unrolled: 1-line block ×3, first 2 shown]
.LBB0_58:
	s_cbranch_execz .LBB0_60
	s_branch .LBB0_62
.LBB0_59:
                                        ; implicit-def: $vgpr3
                                        ; implicit-def: $vgpr4
                                        ; implicit-def: $vgpr2
.LBB0_60:
	v_mov_b32_e32 v1, 0
	s_and_not1_b32 vcc_lo, exec_lo, s20
	s_delay_alu instid0(VALU_DEP_1) | instskip(NEXT) | instid1(VALU_DEP_1)
	v_mul_u64_e32 v[2:3], s[36:37], v[0:1]
	v_add_nc_u32_e32 v2, v0, v3
	s_delay_alu instid0(VALU_DEP_1) | instskip(NEXT) | instid1(VALU_DEP_1)
	v_lshrrev_b32_e32 v6, s23, v2
	v_mul_lo_u32 v2, v6, s21
	s_delay_alu instid0(VALU_DEP_1) | instskip(NEXT) | instid1(VALU_DEP_1)
	v_sub_nc_u32_e32 v4, v0, v2
	v_mul_lo_u32 v2, v4, s24
	v_mul_lo_u32 v3, v4, s26
	;; [unrolled: 1-line block ×3, first 2 shown]
	s_cbranch_vccnz .LBB0_62
; %bb.61:
	v_mov_b32_e32 v7, v1
	s_delay_alu instid0(VALU_DEP_1) | instskip(NEXT) | instid1(VALU_DEP_1)
	v_mul_u64_e32 v[8:9], s[38:39], v[6:7]
	v_add_nc_u32_e32 v1, v6, v9
	s_delay_alu instid0(VALU_DEP_1) | instskip(NEXT) | instid1(VALU_DEP_1)
	v_lshrrev_b32_e32 v1, s30, v1
	v_mul_lo_u32 v1, v1, s28
	s_delay_alu instid0(VALU_DEP_1) | instskip(NEXT) | instid1(VALU_DEP_1)
	v_sub_nc_u32_e32 v1, v6, v1
	v_mad_u32 v2, v1, s27, v2
	v_mad_u32 v4, v1, s34, v4
	;; [unrolled: 1-line block ×3, first 2 shown]
.LBB0_62:
	global_load_b64 v[6:7], v3, s[8:9]
	v_mov_b64_e32 v[8:9], 0
	s_mov_b32 s1, exec_lo
	s_wait_loadcnt 0x0
	v_cmpx_lt_i64_e64 s[10:11], v[6:7]
	s_cbranch_execz .LBB0_68
; %bb.63:
	v_sub_nc_u64_e64 v[12:13], v[6:7], s[10:11]
                                        ; implicit-def: $vgpr8_vgpr9
	s_mov_b32 s0, exec_lo
	s_delay_alu instid0(VALU_DEP_1) | instskip(NEXT) | instid1(VALU_DEP_1)
	v_dual_mov_b32 v10, 0 :: v_dual_bitop2_b32 v11, s13, v13 bitop3:0x54
	v_cmpx_ne_u64_e32 0, v[10:11]
	s_xor_b32 s44, exec_lo, s0
	s_cbranch_execz .LBB0_65
; %bb.64:
	s_ashr_i32 s14, s13, 31
	s_mov_b32 s53, 0
	s_mov_b32 s15, s14
	v_dual_mov_b32 v17, v10 :: v_dual_ashrrev_i32 v8, 31, v13
	s_add_nc_u64 s[42:43], s[12:13], s[14:15]
	v_mov_b32_e32 v19, v10
	s_xor_b64 s[42:43], s[42:43], s[14:15]
	s_delay_alu instid0(VALU_DEP_2)
	v_mov_b32_e32 v9, v8
	s_cvt_f32_u32 s0, s42
	s_cvt_f32_u32 s15, s43
	s_sub_nc_u64 s[48:49], 0, s[42:43]
	v_mov_b32_e32 v25, v10
	v_add_nc_u64_e32 v[12:13], v[12:13], v[8:9]
	s_fmamk_f32 s0, s15, 0x4f800000, s0
	v_mov_b32_e32 v11, v10
	s_delay_alu instid0(SALU_CYCLE_2) | instskip(NEXT) | instid1(VALU_DEP_2)
	v_s_rcp_f32 s0, s0
	v_xor_b32_e32 v16, v12, v8
	s_delay_alu instid0(VALU_DEP_3) | instskip(SKIP_1) | instid1(TRANS32_DEP_1)
	v_xor_b32_e32 v18, v13, v8
	v_xor_b32_e32 v8, s14, v8
	s_mul_f32 s0, s0, 0x5f7ffffc
	s_delay_alu instid0(SALU_CYCLE_3) | instskip(NEXT) | instid1(SALU_CYCLE_3)
	s_mul_f32 s15, s0, 0x2f800000
	s_trunc_f32 s15, s15
	s_delay_alu instid0(SALU_CYCLE_3) | instskip(SKIP_1) | instid1(SALU_CYCLE_2)
	s_fmamk_f32 s0, s15, 0xcf800000, s0
	s_cvt_u32_f32 s47, s15
	s_cvt_u32_f32 s46, s0
	s_delay_alu instid0(SALU_CYCLE_3) | instskip(NEXT) | instid1(SALU_CYCLE_1)
	s_mul_u64 s[50:51], s[48:49], s[46:47]
	s_mul_hi_u32 s55, s46, s51
	s_mul_i32 s54, s46, s51
	s_mul_hi_u32 s52, s46, s50
	s_mul_i32 s15, s47, s50
	s_add_nc_u64 s[54:55], s[52:53], s[54:55]
	s_mul_hi_u32 s0, s47, s50
	s_mul_hi_u32 s45, s47, s51
	s_add_co_u32 s15, s54, s15
	s_add_co_ci_u32 s52, s55, s0
	s_mul_i32 s50, s47, s51
	s_add_co_ci_u32 s51, s45, 0
	s_delay_alu instid0(SALU_CYCLE_1) | instskip(NEXT) | instid1(SALU_CYCLE_1)
	s_add_nc_u64 s[50:51], s[52:53], s[50:51]
	s_add_co_u32 s46, s46, s50
	s_cselect_b32 s0, -1, 0
	s_delay_alu instid0(SALU_CYCLE_1) | instskip(SKIP_1) | instid1(SALU_CYCLE_1)
	s_cmp_lg_u32 s0, 0
	s_add_co_ci_u32 s47, s47, s51
	s_mul_u64 s[48:49], s[48:49], s[46:47]
	s_delay_alu instid0(SALU_CYCLE_1)
	s_mul_hi_u32 s51, s46, s49
	s_mul_i32 s50, s46, s49
	s_mul_hi_u32 s52, s46, s48
	s_mul_i32 s15, s47, s48
	s_add_nc_u64 s[50:51], s[52:53], s[50:51]
	s_mul_hi_u32 s0, s47, s48
	s_mul_hi_u32 s45, s47, s49
	s_add_co_u32 s15, s50, s15
	s_add_co_ci_u32 s52, s51, s0
	s_mul_i32 s48, s47, s49
	s_add_co_ci_u32 s49, s45, 0
	s_delay_alu instid0(SALU_CYCLE_1) | instskip(NEXT) | instid1(SALU_CYCLE_1)
	s_add_nc_u64 s[48:49], s[52:53], s[48:49]
	s_add_co_u32 s0, s46, s48
	s_cselect_b32 s15, -1, 0
	v_mul_hi_u32 v24, v16, s0
	s_cmp_lg_u32 s15, 0
	s_add_co_ci_u32 s52, s47, s49
	s_mov_b64 s[46:47], 0xffffffff
	v_mul_u64_e32 v[20:21], s[52:53], v[16:17]
	s_and_b64 s[46:47], s[0:1], s[46:47]
	v_mul_u64_e32 v[22:23], s[52:53], v[18:19]
	v_mul_u64_e32 v[12:13], s[46:47], v[18:19]
	s_delay_alu instid0(VALU_DEP_3) | instskip(NEXT) | instid1(VALU_DEP_1)
	v_add_nc_u64_e32 v[20:21], v[24:25], v[20:21]
	v_add_co_u32 v1, vcc_lo, v20, v12
	s_delay_alu instid0(VALU_DEP_2) | instskip(SKIP_1) | instid1(VALU_DEP_1)
	v_add_co_ci_u32_e32 v10, vcc_lo, v21, v13, vcc_lo
	v_add_co_ci_u32_e32 v23, vcc_lo, 0, v23, vcc_lo
	v_add_nc_u64_e32 v[10:11], v[10:11], v[22:23]
	s_delay_alu instid0(VALU_DEP_1) | instskip(NEXT) | instid1(VALU_DEP_1)
	v_mul_u64_e32 v[12:13], s[42:43], v[10:11]
	v_sub_nc_u32_e32 v1, v18, v13
	s_delay_alu instid0(VALU_DEP_2) | instskip(NEXT) | instid1(VALU_DEP_1)
	v_sub_co_u32 v3, vcc_lo, v16, v12
	v_sub_co_ci_u32_e64 v9, null, v18, v13, vcc_lo
	s_delay_alu instid0(VALU_DEP_3) | instskip(NEXT) | instid1(VALU_DEP_3)
	v_subrev_co_ci_u32_e64 v1, null, s43, v1, vcc_lo
	v_sub_co_u32 v5, s0, v3, s42
	v_add_nc_u64_e32 v[16:17], 1, v[10:11]
	s_delay_alu instid0(VALU_DEP_3) | instskip(NEXT) | instid1(VALU_DEP_3)
	v_subrev_co_ci_u32_e64 v1, null, 0, v1, s0
	v_cmp_le_u32_e32 vcc_lo, s42, v5
	v_cndmask_b32_e64 v5, 0, -1, vcc_lo
	s_delay_alu instid0(VALU_DEP_3)
	v_cmp_le_u32_e32 vcc_lo, s43, v1
	v_cndmask_b32_e64 v12, 0, -1, vcc_lo
	v_cmp_le_u32_e32 vcc_lo, s42, v3
	v_cndmask_b32_e64 v3, 0, -1, vcc_lo
	;; [unrolled: 2-line block ×3, first 2 shown]
	v_cmp_eq_u32_e32 vcc_lo, s43, v1
	v_cndmask_b32_e32 v1, v12, v5, vcc_lo
	v_cmp_eq_u32_e32 vcc_lo, s43, v9
	v_add_nc_u64_e32 v[12:13], 2, v[10:11]
	v_cndmask_b32_e32 v3, v15, v3, vcc_lo
	s_delay_alu instid0(VALU_DEP_4) | instskip(NEXT) | instid1(VALU_DEP_2)
	v_cmp_ne_u32_e32 vcc_lo, 0, v1
	v_cmp_ne_u32_e64 s0, 0, v3
	s_delay_alu instid0(VALU_DEP_4) | instskip(NEXT) | instid1(VALU_DEP_1)
	v_dual_cndmask_b32 v1, v17, v13, vcc_lo :: v_dual_cndmask_b32 v3, v16, v12, vcc_lo
                                        ; implicit-def: $vgpr12_vgpr13
	v_dual_cndmask_b32 v1, v11, v1, s0 :: v_dual_cndmask_b32 v3, v10, v3, s0
	s_delay_alu instid0(VALU_DEP_1) | instskip(NEXT) | instid1(VALU_DEP_2)
	v_dual_mov_b32 v9, v8 :: v_dual_bitop2_b32 v11, v1, v8 bitop3:0x14
	v_xor_b32_e32 v10, v3, v8
	s_delay_alu instid0(VALU_DEP_1)
	v_sub_nc_u64_e32 v[8:9], v[10:11], v[8:9]
.LBB0_65:
	s_and_not1_saveexec_b32 s0, s44
	s_cbranch_execz .LBB0_67
; %bb.66:
	v_cvt_f32_u32_e32 v1, s12
	s_sub_co_i32 s14, 0, s12
	v_mov_b32_e32 v9, 0
	s_delay_alu instid0(VALU_DEP_2) | instskip(SKIP_1) | instid1(TRANS32_DEP_1)
	v_rcp_iflag_f32_e32 v1, v1
	v_nop
	v_mul_f32_e32 v1, 0x4f7ffffe, v1
	s_delay_alu instid0(VALU_DEP_1) | instskip(NEXT) | instid1(VALU_DEP_1)
	v_cvt_u32_f32_e32 v1, v1
	v_mul_lo_u32 v3, s14, v1
	s_delay_alu instid0(VALU_DEP_1) | instskip(NEXT) | instid1(VALU_DEP_1)
	v_mul_hi_u32 v3, v1, v3
	v_add_nc_u32_e32 v1, v1, v3
	s_delay_alu instid0(VALU_DEP_1) | instskip(NEXT) | instid1(VALU_DEP_1)
	v_mul_hi_u32 v1, v12, v1
	v_mul_lo_u32 v3, v1, s12
	s_delay_alu instid0(VALU_DEP_1) | instskip(NEXT) | instid1(VALU_DEP_1)
	v_sub_nc_u32_e32 v3, v12, v3
	v_subrev_nc_u32_e32 v8, s12, v3
	v_cmp_le_u32_e32 vcc_lo, s12, v3
	s_delay_alu instid0(VALU_DEP_2) | instskip(NEXT) | instid1(VALU_DEP_1)
	v_dual_add_nc_u32 v5, 1, v1 :: v_dual_cndmask_b32 v3, v3, v8, vcc_lo
	v_cndmask_b32_e32 v1, v1, v5, vcc_lo
	s_delay_alu instid0(VALU_DEP_2) | instskip(NEXT) | instid1(VALU_DEP_2)
	v_cmp_le_u32_e32 vcc_lo, s12, v3
	v_add_nc_u32_e32 v5, 1, v1
	s_delay_alu instid0(VALU_DEP_1)
	v_cndmask_b32_e32 v8, v1, v5, vcc_lo
.LBB0_67:
	s_or_b32 exec_lo, exec_lo, s0
.LBB0_68:
	s_delay_alu instid0(SALU_CYCLE_1) | instskip(SKIP_2) | instid1(VALU_DEP_1)
	s_or_b32 exec_lo, exec_lo, s1
	v_dual_mov_b32 v10, 0 :: v_dual_bitop2_b32 v11, s13, v7 bitop3:0x54
                                        ; implicit-def: $vgpr12_vgpr13
	s_mov_b32 s0, exec_lo
	v_cmpx_ne_u64_e32 0, v[10:11]
	s_xor_b32 s1, exec_lo, s0
	s_cbranch_execz .LBB0_70
; %bb.69:
	s_ashr_i32 s14, s13, 31
	s_mov_b32 s51, 0
	s_mov_b32 s15, s14
	v_dual_mov_b32 v19, v10 :: v_dual_ashrrev_i32 v12, 31, v7
	s_add_nc_u64 s[42:43], s[12:13], s[14:15]
	v_mov_b32_e32 v21, v10
	s_xor_b64 s[42:43], s[42:43], s[14:15]
	s_delay_alu instid0(VALU_DEP_2)
	v_mov_b32_e32 v13, v12
	s_cvt_f32_u32 s0, s42
	s_cvt_f32_u32 s15, s43
	s_sub_nc_u64 s[46:47], 0, s[42:43]
	v_mov_b32_e32 v27, v10
	v_add_nc_u64_e32 v[16:17], v[6:7], v[12:13]
	s_fmamk_f32 s0, s15, 0x4f800000, s0
	v_mov_b32_e32 v11, v10
	s_delay_alu instid0(SALU_CYCLE_2) | instskip(NEXT) | instid1(VALU_DEP_2)
	v_s_rcp_f32 s0, s0
	v_xor_b32_e32 v18, v16, v12
	s_delay_alu instid0(VALU_DEP_3) | instskip(SKIP_1) | instid1(TRANS32_DEP_1)
	v_xor_b32_e32 v20, v17, v12
	v_xor_b32_e32 v12, s14, v12
	s_mul_f32 s0, s0, 0x5f7ffffc
	s_delay_alu instid0(SALU_CYCLE_3) | instskip(NEXT) | instid1(SALU_CYCLE_3)
	s_mul_f32 s15, s0, 0x2f800000
	s_trunc_f32 s15, s15
	s_delay_alu instid0(SALU_CYCLE_3) | instskip(SKIP_1) | instid1(SALU_CYCLE_2)
	s_fmamk_f32 s0, s15, 0xcf800000, s0
	s_cvt_u32_f32 s45, s15
	s_cvt_u32_f32 s44, s0
	s_delay_alu instid0(SALU_CYCLE_3) | instskip(NEXT) | instid1(SALU_CYCLE_1)
	s_mul_u64 s[48:49], s[46:47], s[44:45]
	s_mul_hi_u32 s53, s44, s49
	s_mul_i32 s52, s44, s49
	s_mul_hi_u32 s50, s44, s48
	s_mul_i32 s15, s45, s48
	s_add_nc_u64 s[52:53], s[50:51], s[52:53]
	s_mul_hi_u32 s0, s45, s48
	s_mul_hi_u32 s54, s45, s49
	s_add_co_u32 s15, s52, s15
	s_add_co_ci_u32 s50, s53, s0
	s_mul_i32 s48, s45, s49
	s_add_co_ci_u32 s49, s54, 0
	s_delay_alu instid0(SALU_CYCLE_1) | instskip(NEXT) | instid1(SALU_CYCLE_1)
	s_add_nc_u64 s[48:49], s[50:51], s[48:49]
	s_add_co_u32 s44, s44, s48
	s_cselect_b32 s0, -1, 0
	s_delay_alu instid0(SALU_CYCLE_1) | instskip(SKIP_1) | instid1(SALU_CYCLE_1)
	s_cmp_lg_u32 s0, 0
	s_add_co_ci_u32 s45, s45, s49
	s_mul_u64 s[46:47], s[46:47], s[44:45]
	s_delay_alu instid0(SALU_CYCLE_1)
	s_mul_hi_u32 s49, s44, s47
	s_mul_i32 s48, s44, s47
	s_mul_hi_u32 s50, s44, s46
	s_mul_i32 s15, s45, s46
	s_add_nc_u64 s[48:49], s[50:51], s[48:49]
	s_mul_hi_u32 s0, s45, s46
	s_mul_hi_u32 s52, s45, s47
	s_add_co_u32 s15, s48, s15
	s_add_co_ci_u32 s50, s49, s0
	s_mul_i32 s46, s45, s47
	s_add_co_ci_u32 s47, s52, 0
	s_delay_alu instid0(SALU_CYCLE_1) | instskip(NEXT) | instid1(SALU_CYCLE_1)
	s_add_nc_u64 s[46:47], s[50:51], s[46:47]
	s_add_co_u32 s0, s44, s46
	s_cselect_b32 s15, -1, 0
	v_mul_hi_u32 v26, v18, s0
	s_cmp_lg_u32 s15, 0
	s_add_co_ci_u32 s50, s45, s47
	s_mov_b64 s[44:45], 0xffffffff
	v_mul_u64_e32 v[22:23], s[50:51], v[18:19]
	s_and_b64 s[44:45], s[0:1], s[44:45]
	v_mul_u64_e32 v[24:25], s[50:51], v[20:21]
	v_mul_u64_e32 v[16:17], s[44:45], v[20:21]
	s_delay_alu instid0(VALU_DEP_3) | instskip(NEXT) | instid1(VALU_DEP_1)
	v_add_nc_u64_e32 v[22:23], v[26:27], v[22:23]
	v_add_co_u32 v1, vcc_lo, v22, v16
	s_delay_alu instid0(VALU_DEP_2) | instskip(SKIP_1) | instid1(VALU_DEP_1)
	v_add_co_ci_u32_e32 v10, vcc_lo, v23, v17, vcc_lo
	v_add_co_ci_u32_e32 v25, vcc_lo, 0, v25, vcc_lo
	v_add_nc_u64_e32 v[10:11], v[10:11], v[24:25]
	s_delay_alu instid0(VALU_DEP_1) | instskip(NEXT) | instid1(VALU_DEP_1)
	v_mul_u64_e32 v[16:17], s[42:43], v[10:11]
	v_sub_nc_u32_e32 v1, v20, v17
	s_delay_alu instid0(VALU_DEP_2) | instskip(NEXT) | instid1(VALU_DEP_1)
	v_sub_co_u32 v3, vcc_lo, v18, v16
	v_sub_co_ci_u32_e64 v13, null, v20, v17, vcc_lo
	s_delay_alu instid0(VALU_DEP_3) | instskip(NEXT) | instid1(VALU_DEP_3)
	v_subrev_co_ci_u32_e64 v1, null, s43, v1, vcc_lo
	v_sub_co_u32 v5, s0, v3, s42
	v_add_nc_u64_e32 v[16:17], 2, v[10:11]
	s_delay_alu instid0(VALU_DEP_3) | instskip(NEXT) | instid1(VALU_DEP_3)
	v_subrev_co_ci_u32_e64 v1, null, 0, v1, s0
	v_cmp_le_u32_e32 vcc_lo, s42, v5
	v_add_nc_u64_e32 v[18:19], 1, v[10:11]
	v_cndmask_b32_e64 v5, 0, -1, vcc_lo
	s_delay_alu instid0(VALU_DEP_4)
	v_cmp_le_u32_e32 vcc_lo, s43, v1
	v_cndmask_b32_e64 v15, 0, -1, vcc_lo
	v_cmp_le_u32_e32 vcc_lo, s42, v3
	v_cndmask_b32_e64 v3, 0, -1, vcc_lo
	v_cmp_le_u32_e32 vcc_lo, s43, v13
	v_cndmask_b32_e64 v20, 0, -1, vcc_lo
	v_cmp_eq_u32_e32 vcc_lo, s43, v1
	v_cndmask_b32_e32 v1, v15, v5, vcc_lo
	v_cmp_eq_u32_e32 vcc_lo, s43, v13
	s_delay_alu instid0(VALU_DEP_4) | instskip(NEXT) | instid1(VALU_DEP_3)
	v_cndmask_b32_e32 v3, v20, v3, vcc_lo
	v_cmp_ne_u32_e32 vcc_lo, 0, v1
	s_delay_alu instid0(VALU_DEP_2) | instskip(SKIP_1) | instid1(VALU_DEP_1)
	v_cmp_ne_u32_e64 s0, 0, v3
	v_dual_cndmask_b32 v1, v19, v17, vcc_lo :: v_dual_cndmask_b32 v3, v18, v16, vcc_lo
	v_dual_cndmask_b32 v1, v11, v1, s0 :: v_dual_cndmask_b32 v3, v10, v3, s0
	s_delay_alu instid0(VALU_DEP_1) | instskip(NEXT) | instid1(VALU_DEP_2)
	v_dual_mov_b32 v13, v12 :: v_dual_bitop2_b32 v11, v1, v12 bitop3:0x14
	v_xor_b32_e32 v10, v3, v12
	s_delay_alu instid0(VALU_DEP_1)
	v_sub_nc_u64_e32 v[12:13], v[10:11], v[12:13]
.LBB0_70:
	s_and_not1_saveexec_b32 s0, s1
	s_cbranch_execz .LBB0_72
; %bb.71:
	v_cvt_f32_u32_e32 v1, s12
	s_sub_co_i32 s1, 0, s12
	v_mov_b32_e32 v13, 0
	s_delay_alu instid0(VALU_DEP_2) | instskip(SKIP_1) | instid1(TRANS32_DEP_1)
	v_rcp_iflag_f32_e32 v1, v1
	v_nop
	v_mul_f32_e32 v1, 0x4f7ffffe, v1
	s_delay_alu instid0(VALU_DEP_1) | instskip(NEXT) | instid1(VALU_DEP_1)
	v_cvt_u32_f32_e32 v1, v1
	v_mul_lo_u32 v3, s1, v1
	s_delay_alu instid0(VALU_DEP_1) | instskip(NEXT) | instid1(VALU_DEP_1)
	v_mul_hi_u32 v3, v1, v3
	v_add_nc_u32_e32 v1, v1, v3
	s_delay_alu instid0(VALU_DEP_1) | instskip(NEXT) | instid1(VALU_DEP_1)
	v_mul_hi_u32 v1, v6, v1
	v_mul_lo_u32 v3, v1, s12
	s_delay_alu instid0(VALU_DEP_1) | instskip(NEXT) | instid1(VALU_DEP_1)
	v_sub_nc_u32_e32 v3, v6, v3
	v_subrev_nc_u32_e32 v10, s12, v3
	v_cmp_le_u32_e32 vcc_lo, s12, v3
	s_delay_alu instid0(VALU_DEP_2) | instskip(NEXT) | instid1(VALU_DEP_1)
	v_dual_add_nc_u32 v5, 1, v1 :: v_dual_cndmask_b32 v3, v3, v10, vcc_lo
	v_cndmask_b32_e32 v1, v1, v5, vcc_lo
	s_delay_alu instid0(VALU_DEP_2) | instskip(NEXT) | instid1(VALU_DEP_2)
	v_cmp_le_u32_e32 vcc_lo, s12, v3
	v_add_nc_u32_e32 v5, 1, v1
	s_delay_alu instid0(VALU_DEP_1)
	v_cndmask_b32_e32 v12, v1, v5, vcc_lo
.LBB0_72:
	s_or_b32 exec_lo, exec_lo, s0
	v_mul_u64_e32 v[16:17], s[12:13], v[8:9]
	s_delay_alu instid0(VALU_DEP_2) | instskip(SKIP_2) | instid1(VALU_DEP_2)
	v_min_i64 v[10:11], v[12:13], s[2:3]
	s_mov_b32 s14, 0
	s_mov_b32 s15, exec_lo
	v_add_nc_u64_e32 v[12:13], s[10:11], v[16:17]
	v_cmp_gt_i64_e32 vcc_lo, v[16:17], v[6:7]
	s_delay_alu instid0(VALU_DEP_2) | instskip(SKIP_2) | instid1(SALU_CYCLE_1)
	v_cmp_ge_i64_e64 s0, v[6:7], v[12:13]
	v_mov_b32_e32 v13, s14
	s_or_b32 s0, vcc_lo, s0
	v_cndmask_b32_e64 v12, 0, 1, s0
	s_delay_alu instid0(VALU_DEP_1) | instskip(NEXT) | instid1(VALU_DEP_1)
	v_add_nc_u64_e32 v[8:9], v[8:9], v[12:13]
	v_cmpx_le_i64_e64 v[8:9], v[10:11]
	s_cbranch_execz .LBB0_75
; %bb.73:
	global_load_u8 v1, v2, s[4:5]
	v_mul_u64_e32 v[12:13], s[12:13], v[8:9]
	v_mul_u64_e32 v[16:17], s[16:17], v[8:9]
	s_mul_u64 s[0:1], s[12:13], s[18:19]
	s_delay_alu instid0(SALU_CYCLE_1) | instskip(NEXT) | instid1(VALU_DEP_2)
	s_sub_nc_u64 s[0:1], s[16:17], s[0:1]
	v_sub_nc_u64_e32 v[6:7], v[6:7], v[12:13]
	s_delay_alu instid0(VALU_DEP_1) | instskip(NEXT) | instid1(VALU_DEP_1)
	v_mad_nc_u64_u32 v[12:13], s18, v6, v[16:17]
	v_mad_u32 v3, s19, v6, v13
	s_delay_alu instid0(VALU_DEP_1) | instskip(SKIP_1) | instid1(VALU_DEP_1)
	v_mad_u32 v13, s18, v7, v3
	v_mov_b32_e32 v3, 0
	v_mov_b32_e32 v5, v3
	s_wait_xcnt 0x0
	v_add_nc_u64_e32 v[2:3], s[4:5], v[2:3]
	s_delay_alu instid0(VALU_DEP_2) | instskip(SKIP_1) | instid1(VALU_DEP_2)
	v_add_nc_u64_e32 v[6:7], v[12:13], v[4:5]
	v_add_nc_u64_e32 v[4:5], -1, v[8:9]
	v_add_nc_u64_e32 v[6:7], s[6:7], v[6:7]
.LBB0_74:                               ; =>This Inner Loop Header: Depth=1
	global_load_u8 v8, v[6:7], off
	v_add_nc_u64_e32 v[4:5], 1, v[4:5]
	s_wait_xcnt 0x0
	v_add_nc_u64_e32 v[6:7], s[0:1], v[6:7]
	s_delay_alu instid0(VALU_DEP_2)
	v_cmp_ge_i64_e32 vcc_lo, v[4:5], v[10:11]
	s_or_b32 s14, vcc_lo, s14
	s_wait_loadcnt 0x0
	v_add_nc_u16 v1, v8, v1
	global_store_b8 v[2:3], v1, off
	s_wait_xcnt 0x0
	s_and_not1_b32 exec_lo, exec_lo, s14
	s_cbranch_execnz .LBB0_74
.LBB0_75:
	s_or_b32 exec_lo, exec_lo, s15
	v_add_nc_u32_e32 v0, 0x100, v0
	s_or_b32 exec_lo, exec_lo, s29
	s_delay_alu instid0(SALU_CYCLE_1) | instskip(NEXT) | instid1(VALU_DEP_1)
	s_mov_b32 s0, exec_lo
	v_cmpx_gt_i32_e64 s31, v0
	s_cbranch_execz .LBB0_99
.LBB0_76:
	v_cmp_ne_u32_e32 vcc_lo, 1, v14
	s_cbranch_vccnz .LBB0_83
; %bb.77:
	v_dual_mov_b32 v3, 0 :: v_dual_mov_b32 v4, 0
	v_mov_b32_e32 v2, 0
	s_and_not1_b32 vcc_lo, exec_lo, s33
	s_cbranch_vccnz .LBB0_82
; %bb.78:
	v_dual_mov_b32 v2, 0 :: v_dual_mov_b32 v1, v0
	v_dual_mov_b32 v4, 0 :: v_dual_mov_b32 v3, 0
	s_add_co_i32 s14, s22, 1
	s_mov_b64 s[0:1], 0xffffffffffffffe8
	s_and_b32 s14, s14, 30
	s_add_nc_u64 s[0:1], s[40:41], s[0:1]
.LBB0_79:                               ; =>This Inner Loop Header: Depth=1
	s_clause 0x1
	s_load_b128 s[40:43], s[0:1], 0x1c
	s_load_b64 s[48:49], s[0:1], 0x2c
	s_add_co_i32 s14, s14, -2
	s_delay_alu instid0(SALU_CYCLE_1) | instskip(SKIP_2) | instid1(VALU_DEP_1)
	s_cmp_eq_u32 s14, 0
	s_wait_kmcnt 0x0
	v_mul_hi_u32 v5, s41, v1
	v_add_nc_u32_e32 v5, v1, v5
	s_delay_alu instid0(VALU_DEP_1) | instskip(NEXT) | instid1(VALU_DEP_1)
	v_lshrrev_b32_e32 v5, s42, v5
	v_mul_hi_u32 v6, s48, v5
	v_mul_lo_u32 v7, v5, s40
	s_clause 0x1
	s_load_b128 s[44:47], s[0:1], 0xdc
	s_load_b64 s[40:41], s[0:1], 0xec
	s_wait_xcnt 0x0
	s_add_nc_u64 s[0:1], s[0:1], 24
	s_delay_alu instid0(VALU_DEP_2) | instskip(NEXT) | instid1(VALU_DEP_1)
	v_add_nc_u32_e32 v6, v5, v6
	v_dual_sub_nc_u32 v7, v1, v7 :: v_dual_lshrrev_b32 v1, s49, v6
	s_wait_kmcnt 0x0
	s_delay_alu instid0(VALU_DEP_1) | instskip(NEXT) | instid1(VALU_DEP_2)
	v_mad_u32 v2, v7, s44, v2
	v_mul_lo_u32 v6, v1, s43
	v_mad_u32 v3, v7, s46, v3
	v_mad_u32 v4, v7, s45, v4
	s_delay_alu instid0(VALU_DEP_3) | instskip(NEXT) | instid1(VALU_DEP_1)
	v_sub_nc_u32_e32 v5, v5, v6
	v_mad_u32 v2, v5, s47, v2
	s_delay_alu instid0(VALU_DEP_4) | instskip(NEXT) | instid1(VALU_DEP_4)
	v_mad_u32 v3, v5, s41, v3
	v_mad_u32 v4, v5, s40, v4
	s_cbranch_scc0 .LBB0_79
; %bb.80:
	s_bitcmp1_b32 s22, 0
	s_cselect_b32 s14, -1, 0
	s_delay_alu instid0(SALU_CYCLE_1)
	s_and_b32 vcc_lo, exec_lo, s14
	s_cbranch_vccnz .LBB0_82
; %bb.81:
	s_clause 0x1
	s_load_b96 s[40:42], s[0:1], 0x1c
	s_load_b96 s[44:46], s[0:1], 0xdc
	s_wait_kmcnt 0x0
	v_mul_hi_u32 v5, s41, v1
	s_delay_alu instid0(VALU_DEP_1) | instskip(NEXT) | instid1(VALU_DEP_1)
	v_add_nc_u32_e32 v5, v1, v5
	v_lshrrev_b32_e32 v5, s42, v5
	s_delay_alu instid0(VALU_DEP_1) | instskip(NEXT) | instid1(VALU_DEP_1)
	v_mul_lo_u32 v5, v5, s40
	v_sub_nc_u32_e32 v1, v1, v5
	s_delay_alu instid0(VALU_DEP_1)
	v_mad_u32 v2, v1, s44, v2
	v_mad_u32 v4, v1, s45, v4
	;; [unrolled: 1-line block ×3, first 2 shown]
.LBB0_82:
	s_cbranch_execz .LBB0_84
	s_branch .LBB0_86
.LBB0_83:
                                        ; implicit-def: $vgpr3
                                        ; implicit-def: $vgpr4
                                        ; implicit-def: $vgpr2
.LBB0_84:
	v_mov_b32_e32 v1, 0
	s_and_not1_b32 vcc_lo, exec_lo, s20
	s_delay_alu instid0(VALU_DEP_1) | instskip(NEXT) | instid1(VALU_DEP_1)
	v_mul_u64_e32 v[2:3], s[36:37], v[0:1]
	v_add_nc_u32_e32 v2, v0, v3
	s_delay_alu instid0(VALU_DEP_1) | instskip(NEXT) | instid1(VALU_DEP_1)
	v_lshrrev_b32_e32 v6, s23, v2
	v_mul_lo_u32 v2, v6, s21
	s_delay_alu instid0(VALU_DEP_1) | instskip(NEXT) | instid1(VALU_DEP_1)
	v_sub_nc_u32_e32 v0, v0, v2
	v_mul_lo_u32 v2, v0, s24
	v_mul_lo_u32 v3, v0, s26
	;; [unrolled: 1-line block ×3, first 2 shown]
	s_cbranch_vccnz .LBB0_86
; %bb.85:
	v_mov_b32_e32 v7, v1
	s_delay_alu instid0(VALU_DEP_1) | instskip(NEXT) | instid1(VALU_DEP_1)
	v_mul_u64_e32 v[0:1], s[38:39], v[6:7]
	v_add_nc_u32_e32 v0, v6, v1
	s_delay_alu instid0(VALU_DEP_1) | instskip(NEXT) | instid1(VALU_DEP_1)
	v_lshrrev_b32_e32 v0, s30, v0
	v_mul_lo_u32 v0, v0, s28
	s_delay_alu instid0(VALU_DEP_1) | instskip(NEXT) | instid1(VALU_DEP_1)
	v_sub_nc_u32_e32 v0, v6, v0
	v_mad_u32 v2, v0, s27, v2
	v_mad_u32 v4, v0, s34, v4
	;; [unrolled: 1-line block ×3, first 2 shown]
.LBB0_86:
	global_load_b64 v[0:1], v3, s[8:9]
	v_mov_b64_e32 v[6:7], 0
	s_mov_b32 s1, exec_lo
	s_wait_loadcnt 0x0
	v_cmpx_lt_i64_e64 s[10:11], v[0:1]
	s_cbranch_execz .LBB0_92
; %bb.87:
	v_sub_nc_u64_e64 v[10:11], v[0:1], s[10:11]
                                        ; implicit-def: $vgpr6_vgpr7
	s_mov_b32 s0, exec_lo
	s_delay_alu instid0(VALU_DEP_1) | instskip(NEXT) | instid1(VALU_DEP_1)
	v_dual_mov_b32 v8, 0 :: v_dual_bitop2_b32 v9, s13, v11 bitop3:0x54
	v_cmpx_ne_u64_e32 0, v[8:9]
	s_xor_b32 s20, exec_lo, s0
	s_cbranch_execz .LBB0_89
; %bb.88:
	s_ashr_i32 s8, s13, 31
	s_mov_b32 s29, 0
	s_mov_b32 s9, s8
	v_dual_mov_b32 v13, v8 :: v_dual_ashrrev_i32 v6, 31, v11
	s_add_nc_u64 s[14:15], s[12:13], s[8:9]
	v_mov_b32_e32 v15, v8
	s_xor_b64 s[14:15], s[14:15], s[8:9]
	s_delay_alu instid0(VALU_DEP_2)
	v_mov_b32_e32 v7, v6
	s_cvt_f32_u32 s0, s14
	s_cvt_f32_u32 s9, s15
	s_sub_nc_u64 s[24:25], 0, s[14:15]
	v_mov_b32_e32 v21, v8
	v_add_nc_u64_e32 v[10:11], v[10:11], v[6:7]
	s_fmamk_f32 s0, s9, 0x4f800000, s0
	v_mov_b32_e32 v9, v8
	s_delay_alu instid0(SALU_CYCLE_2) | instskip(NEXT) | instid1(VALU_DEP_2)
	v_s_rcp_f32 s0, s0
	v_xor_b32_e32 v12, v10, v6
	s_delay_alu instid0(VALU_DEP_3) | instskip(SKIP_1) | instid1(TRANS32_DEP_1)
	v_xor_b32_e32 v14, v11, v6
	v_xor_b32_e32 v6, s8, v6
	s_mul_f32 s0, s0, 0x5f7ffffc
	s_delay_alu instid0(SALU_CYCLE_3) | instskip(NEXT) | instid1(SALU_CYCLE_3)
	s_mul_f32 s9, s0, 0x2f800000
	s_trunc_f32 s9, s9
	s_delay_alu instid0(SALU_CYCLE_3) | instskip(SKIP_1) | instid1(SALU_CYCLE_2)
	s_fmamk_f32 s0, s9, 0xcf800000, s0
	s_cvt_u32_f32 s23, s9
	s_cvt_u32_f32 s22, s0
	s_delay_alu instid0(SALU_CYCLE_3) | instskip(NEXT) | instid1(SALU_CYCLE_1)
	s_mul_u64 s[26:27], s[24:25], s[22:23]
	s_mul_hi_u32 s31, s22, s27
	s_mul_i32 s30, s22, s27
	s_mul_hi_u32 s28, s22, s26
	s_mul_i32 s9, s23, s26
	s_add_nc_u64 s[30:31], s[28:29], s[30:31]
	s_mul_hi_u32 s0, s23, s26
	s_mul_hi_u32 s21, s23, s27
	s_add_co_u32 s9, s30, s9
	s_add_co_ci_u32 s28, s31, s0
	s_mul_i32 s26, s23, s27
	s_add_co_ci_u32 s27, s21, 0
	s_delay_alu instid0(SALU_CYCLE_1) | instskip(NEXT) | instid1(SALU_CYCLE_1)
	s_add_nc_u64 s[26:27], s[28:29], s[26:27]
	s_add_co_u32 s22, s22, s26
	s_cselect_b32 s0, -1, 0
	s_delay_alu instid0(SALU_CYCLE_1) | instskip(SKIP_1) | instid1(SALU_CYCLE_1)
	s_cmp_lg_u32 s0, 0
	s_add_co_ci_u32 s23, s23, s27
	s_mul_u64 s[24:25], s[24:25], s[22:23]
	s_delay_alu instid0(SALU_CYCLE_1)
	s_mul_hi_u32 s27, s22, s25
	s_mul_i32 s26, s22, s25
	s_mul_hi_u32 s28, s22, s24
	s_mul_i32 s9, s23, s24
	s_add_nc_u64 s[26:27], s[28:29], s[26:27]
	s_mul_hi_u32 s0, s23, s24
	s_mul_hi_u32 s21, s23, s25
	s_add_co_u32 s9, s26, s9
	s_add_co_ci_u32 s28, s27, s0
	s_mul_i32 s24, s23, s25
	s_add_co_ci_u32 s25, s21, 0
	s_delay_alu instid0(SALU_CYCLE_1) | instskip(NEXT) | instid1(SALU_CYCLE_1)
	s_add_nc_u64 s[24:25], s[28:29], s[24:25]
	s_add_co_u32 s0, s22, s24
	s_cselect_b32 s9, -1, 0
	v_mul_hi_u32 v20, v12, s0
	s_cmp_lg_u32 s9, 0
	s_add_co_ci_u32 s28, s23, s25
	s_mov_b64 s[22:23], 0xffffffff
	v_mul_u64_e32 v[16:17], s[28:29], v[12:13]
	s_and_b64 s[22:23], s[0:1], s[22:23]
	v_mul_u64_e32 v[18:19], s[28:29], v[14:15]
	v_mul_u64_e32 v[10:11], s[22:23], v[14:15]
	s_delay_alu instid0(VALU_DEP_3) | instskip(NEXT) | instid1(VALU_DEP_1)
	v_add_nc_u64_e32 v[16:17], v[20:21], v[16:17]
	v_add_co_u32 v3, vcc_lo, v16, v10
	s_delay_alu instid0(VALU_DEP_2) | instskip(SKIP_1) | instid1(VALU_DEP_1)
	v_add_co_ci_u32_e32 v8, vcc_lo, v17, v11, vcc_lo
	v_add_co_ci_u32_e32 v19, vcc_lo, 0, v19, vcc_lo
	v_add_nc_u64_e32 v[8:9], v[8:9], v[18:19]
	s_delay_alu instid0(VALU_DEP_1) | instskip(NEXT) | instid1(VALU_DEP_1)
	v_mul_u64_e32 v[10:11], s[14:15], v[8:9]
	v_sub_nc_u32_e32 v3, v14, v11
	s_delay_alu instid0(VALU_DEP_2) | instskip(NEXT) | instid1(VALU_DEP_1)
	v_sub_co_u32 v5, vcc_lo, v12, v10
	v_sub_co_ci_u32_e64 v14, null, v14, v11, vcc_lo
	s_delay_alu instid0(VALU_DEP_3) | instskip(NEXT) | instid1(VALU_DEP_3)
	v_subrev_co_ci_u32_e64 v3, null, s15, v3, vcc_lo
	v_sub_co_u32 v7, s0, v5, s14
	v_add_nc_u64_e32 v[12:13], 1, v[8:9]
	s_delay_alu instid0(VALU_DEP_3) | instskip(NEXT) | instid1(VALU_DEP_3)
	v_subrev_co_ci_u32_e64 v3, null, 0, v3, s0
	v_cmp_le_u32_e32 vcc_lo, s14, v7
	v_cndmask_b32_e64 v7, 0, -1, vcc_lo
	s_delay_alu instid0(VALU_DEP_3)
	v_cmp_le_u32_e32 vcc_lo, s15, v3
	v_cndmask_b32_e64 v10, 0, -1, vcc_lo
	v_cmp_le_u32_e32 vcc_lo, s14, v5
	v_cndmask_b32_e64 v5, 0, -1, vcc_lo
	;; [unrolled: 2-line block ×3, first 2 shown]
	v_cmp_eq_u32_e32 vcc_lo, s15, v3
	v_cndmask_b32_e32 v3, v10, v7, vcc_lo
	v_cmp_eq_u32_e32 vcc_lo, s15, v14
	v_add_nc_u64_e32 v[10:11], 2, v[8:9]
	v_cndmask_b32_e32 v5, v15, v5, vcc_lo
	s_delay_alu instid0(VALU_DEP_4) | instskip(NEXT) | instid1(VALU_DEP_2)
	v_cmp_ne_u32_e32 vcc_lo, 0, v3
	v_cmp_ne_u32_e64 s0, 0, v5
	s_delay_alu instid0(VALU_DEP_4) | instskip(NEXT) | instid1(VALU_DEP_1)
	v_dual_cndmask_b32 v3, v13, v11, vcc_lo :: v_dual_cndmask_b32 v5, v12, v10, vcc_lo
                                        ; implicit-def: $vgpr10_vgpr11
	v_dual_cndmask_b32 v3, v9, v3, s0 :: v_dual_cndmask_b32 v5, v8, v5, s0
	s_delay_alu instid0(VALU_DEP_1) | instskip(NEXT) | instid1(VALU_DEP_2)
	v_dual_mov_b32 v7, v6 :: v_dual_bitop2_b32 v9, v3, v6 bitop3:0x14
	v_xor_b32_e32 v8, v5, v6
	s_delay_alu instid0(VALU_DEP_1)
	v_sub_nc_u64_e32 v[6:7], v[8:9], v[6:7]
.LBB0_89:
	s_and_not1_saveexec_b32 s0, s20
	s_cbranch_execz .LBB0_91
; %bb.90:
	v_cvt_f32_u32_e32 v3, s12
	s_sub_co_i32 s8, 0, s12
	s_delay_alu instid0(VALU_DEP_1) | instskip(SKIP_1) | instid1(TRANS32_DEP_1)
	v_rcp_iflag_f32_e32 v3, v3
	v_nop
	v_mul_f32_e32 v3, 0x4f7ffffe, v3
	s_delay_alu instid0(VALU_DEP_1) | instskip(NEXT) | instid1(VALU_DEP_1)
	v_cvt_u32_f32_e32 v3, v3
	v_mul_lo_u32 v5, s8, v3
	s_delay_alu instid0(VALU_DEP_1) | instskip(NEXT) | instid1(VALU_DEP_1)
	v_mul_hi_u32 v5, v3, v5
	v_add_nc_u32_e32 v3, v3, v5
	s_delay_alu instid0(VALU_DEP_1) | instskip(NEXT) | instid1(VALU_DEP_1)
	v_mul_hi_u32 v3, v10, v3
	v_mul_lo_u32 v5, v3, s12
	s_delay_alu instid0(VALU_DEP_1) | instskip(NEXT) | instid1(VALU_DEP_1)
	v_dual_add_nc_u32 v6, 1, v3 :: v_dual_sub_nc_u32 v5, v10, v5
	v_subrev_nc_u32_e32 v7, s12, v5
	v_cmp_le_u32_e32 vcc_lo, s12, v5
	s_delay_alu instid0(VALU_DEP_2) | instskip(NEXT) | instid1(VALU_DEP_4)
	v_dual_cndmask_b32 v5, v5, v7, vcc_lo :: v_dual_mov_b32 v7, 0
	v_cndmask_b32_e32 v3, v3, v6, vcc_lo
	s_delay_alu instid0(VALU_DEP_2) | instskip(NEXT) | instid1(VALU_DEP_2)
	v_cmp_le_u32_e32 vcc_lo, s12, v5
	v_add_nc_u32_e32 v6, 1, v3
	s_delay_alu instid0(VALU_DEP_1)
	v_cndmask_b32_e32 v6, v3, v6, vcc_lo
.LBB0_91:
	s_or_b32 exec_lo, exec_lo, s0
.LBB0_92:
	s_delay_alu instid0(SALU_CYCLE_1) | instskip(SKIP_2) | instid1(VALU_DEP_1)
	s_or_b32 exec_lo, exec_lo, s1
	v_dual_mov_b32 v8, 0 :: v_dual_bitop2_b32 v9, s13, v1 bitop3:0x54
                                        ; implicit-def: $vgpr10_vgpr11
	s_mov_b32 s0, exec_lo
	v_cmpx_ne_u64_e32 0, v[8:9]
	s_xor_b32 s1, exec_lo, s0
	s_cbranch_execz .LBB0_94
; %bb.93:
	s_ashr_i32 s8, s13, 31
	s_mov_b32 s27, 0
	s_mov_b32 s9, s8
	v_dual_mov_b32 v15, v8 :: v_dual_ashrrev_i32 v10, 31, v1
	s_add_nc_u64 s[14:15], s[12:13], s[8:9]
	v_dual_mov_b32 v23, v8 :: v_dual_mov_b32 v9, v8
	s_xor_b64 s[14:15], s[14:15], s[8:9]
	s_delay_alu instid0(VALU_DEP_2) | instskip(SKIP_3) | instid1(VALU_DEP_1)
	v_mov_b32_e32 v11, v10
	s_cvt_f32_u32 s0, s14
	s_cvt_f32_u32 s9, s15
	s_sub_nc_u64 s[22:23], 0, s[14:15]
	v_add_nc_u64_e32 v[12:13], v[0:1], v[10:11]
	s_delay_alu instid0(SALU_CYCLE_1) | instskip(SKIP_1) | instid1(SALU_CYCLE_2)
	s_fmamk_f32 s0, s9, 0x4f800000, s0
	v_mov_b32_e32 v17, v8
	v_s_rcp_f32 s0, s0
	s_delay_alu instid0(VALU_DEP_2) | instskip(NEXT) | instid1(VALU_DEP_3)
	v_xor_b32_e32 v14, v12, v10
	v_xor_b32_e32 v16, v13, v10
	v_xor_b32_e32 v10, s8, v10
	s_delay_alu instid0(TRANS32_DEP_1) | instskip(NEXT) | instid1(SALU_CYCLE_3)
	s_mul_f32 s0, s0, 0x5f7ffffc
	s_mul_f32 s9, s0, 0x2f800000
	s_delay_alu instid0(SALU_CYCLE_3) | instskip(NEXT) | instid1(SALU_CYCLE_3)
	s_trunc_f32 s9, s9
	s_fmamk_f32 s0, s9, 0xcf800000, s0
	s_cvt_u32_f32 s21, s9
	s_delay_alu instid0(SALU_CYCLE_2) | instskip(NEXT) | instid1(SALU_CYCLE_3)
	s_cvt_u32_f32 s20, s0
	s_mul_u64 s[24:25], s[22:23], s[20:21]
	s_delay_alu instid0(SALU_CYCLE_1)
	s_mul_hi_u32 s29, s20, s25
	s_mul_i32 s28, s20, s25
	s_mul_hi_u32 s26, s20, s24
	s_mul_i32 s9, s21, s24
	s_add_nc_u64 s[28:29], s[26:27], s[28:29]
	s_mul_hi_u32 s0, s21, s24
	s_mul_hi_u32 s30, s21, s25
	s_add_co_u32 s9, s28, s9
	s_add_co_ci_u32 s26, s29, s0
	s_mul_i32 s24, s21, s25
	s_add_co_ci_u32 s25, s30, 0
	s_delay_alu instid0(SALU_CYCLE_1) | instskip(NEXT) | instid1(SALU_CYCLE_1)
	s_add_nc_u64 s[24:25], s[26:27], s[24:25]
	s_add_co_u32 s20, s20, s24
	s_cselect_b32 s0, -1, 0
	s_delay_alu instid0(SALU_CYCLE_1) | instskip(SKIP_1) | instid1(SALU_CYCLE_1)
	s_cmp_lg_u32 s0, 0
	s_add_co_ci_u32 s21, s21, s25
	s_mul_u64 s[22:23], s[22:23], s[20:21]
	s_delay_alu instid0(SALU_CYCLE_1)
	s_mul_hi_u32 s25, s20, s23
	s_mul_i32 s24, s20, s23
	s_mul_hi_u32 s26, s20, s22
	s_mul_i32 s9, s21, s22
	s_add_nc_u64 s[24:25], s[26:27], s[24:25]
	s_mul_hi_u32 s0, s21, s22
	s_mul_hi_u32 s28, s21, s23
	s_add_co_u32 s9, s24, s9
	s_add_co_ci_u32 s26, s25, s0
	s_mul_i32 s22, s21, s23
	s_add_co_ci_u32 s23, s28, 0
	s_delay_alu instid0(SALU_CYCLE_1) | instskip(NEXT) | instid1(SALU_CYCLE_1)
	s_add_nc_u64 s[22:23], s[26:27], s[22:23]
	s_add_co_u32 s0, s20, s22
	s_cselect_b32 s9, -1, 0
	v_mul_hi_u32 v22, v14, s0
	s_cmp_lg_u32 s9, 0
	s_add_co_ci_u32 s26, s21, s23
	s_mov_b64 s[20:21], 0xffffffff
	v_mul_u64_e32 v[18:19], s[26:27], v[14:15]
	s_and_b64 s[20:21], s[0:1], s[20:21]
	v_mul_u64_e32 v[20:21], s[26:27], v[16:17]
	v_mul_u64_e32 v[12:13], s[20:21], v[16:17]
	s_delay_alu instid0(VALU_DEP_3) | instskip(NEXT) | instid1(VALU_DEP_1)
	v_add_nc_u64_e32 v[18:19], v[22:23], v[18:19]
	v_add_co_u32 v3, vcc_lo, v18, v12
	s_delay_alu instid0(VALU_DEP_2) | instskip(SKIP_1) | instid1(VALU_DEP_1)
	v_add_co_ci_u32_e32 v8, vcc_lo, v19, v13, vcc_lo
	v_add_co_ci_u32_e32 v21, vcc_lo, 0, v21, vcc_lo
	v_add_nc_u64_e32 v[8:9], v[8:9], v[20:21]
	s_delay_alu instid0(VALU_DEP_1) | instskip(NEXT) | instid1(VALU_DEP_1)
	v_mul_u64_e32 v[12:13], s[14:15], v[8:9]
	v_sub_co_u32 v5, vcc_lo, v14, v12
	v_add_nc_u64_e32 v[14:15], 1, v[8:9]
	s_delay_alu instid0(VALU_DEP_3) | instskip(SKIP_1) | instid1(VALU_DEP_4)
	v_sub_nc_u32_e32 v3, v16, v13
	v_sub_co_ci_u32_e64 v16, null, v16, v13, vcc_lo
	v_sub_co_u32 v11, s0, v5, s14
	s_delay_alu instid0(VALU_DEP_3) | instskip(NEXT) | instid1(VALU_DEP_2)
	v_subrev_co_ci_u32_e64 v3, null, s15, v3, vcc_lo
	v_cmp_le_u32_e32 vcc_lo, s14, v11
	s_delay_alu instid0(VALU_DEP_2) | instskip(SKIP_1) | instid1(VALU_DEP_2)
	v_subrev_co_ci_u32_e64 v3, null, 0, v3, s0
	v_cndmask_b32_e64 v11, 0, -1, vcc_lo
	v_cmp_le_u32_e32 vcc_lo, s15, v3
	v_cndmask_b32_e64 v12, 0, -1, vcc_lo
	v_cmp_le_u32_e32 vcc_lo, s14, v5
	;; [unrolled: 2-line block ×3, first 2 shown]
	v_cndmask_b32_e64 v17, 0, -1, vcc_lo
	v_cmp_eq_u32_e32 vcc_lo, s15, v3
	v_cndmask_b32_e32 v3, v12, v11, vcc_lo
	v_cmp_eq_u32_e32 vcc_lo, s15, v16
	v_add_nc_u64_e32 v[12:13], 2, v[8:9]
	v_cndmask_b32_e32 v5, v17, v5, vcc_lo
	s_delay_alu instid0(VALU_DEP_4) | instskip(NEXT) | instid1(VALU_DEP_2)
	v_cmp_ne_u32_e32 vcc_lo, 0, v3
	v_cmp_ne_u32_e64 s0, 0, v5
	s_delay_alu instid0(VALU_DEP_4) | instskip(NEXT) | instid1(VALU_DEP_1)
	v_dual_cndmask_b32 v3, v15, v13, vcc_lo :: v_dual_cndmask_b32 v5, v14, v12, vcc_lo
	v_dual_cndmask_b32 v3, v9, v3, s0 :: v_dual_cndmask_b32 v5, v8, v5, s0
	s_delay_alu instid0(VALU_DEP_1) | instskip(NEXT) | instid1(VALU_DEP_2)
	v_dual_mov_b32 v11, v10 :: v_dual_bitop2_b32 v9, v3, v10 bitop3:0x14
	v_xor_b32_e32 v8, v5, v10
	s_delay_alu instid0(VALU_DEP_1)
	v_sub_nc_u64_e32 v[10:11], v[8:9], v[10:11]
.LBB0_94:
	s_and_not1_saveexec_b32 s0, s1
	s_cbranch_execz .LBB0_96
; %bb.95:
	v_cvt_f32_u32_e32 v3, s12
	s_sub_co_i32 s1, 0, s12
	v_mov_b32_e32 v11, 0
	s_delay_alu instid0(VALU_DEP_2) | instskip(SKIP_1) | instid1(TRANS32_DEP_1)
	v_rcp_iflag_f32_e32 v3, v3
	v_nop
	v_mul_f32_e32 v3, 0x4f7ffffe, v3
	s_delay_alu instid0(VALU_DEP_1) | instskip(NEXT) | instid1(VALU_DEP_1)
	v_cvt_u32_f32_e32 v3, v3
	v_mul_lo_u32 v5, s1, v3
	s_delay_alu instid0(VALU_DEP_1) | instskip(NEXT) | instid1(VALU_DEP_1)
	v_mul_hi_u32 v5, v3, v5
	v_add_nc_u32_e32 v3, v3, v5
	s_delay_alu instid0(VALU_DEP_1) | instskip(NEXT) | instid1(VALU_DEP_1)
	v_mul_hi_u32 v3, v0, v3
	v_mul_lo_u32 v5, v3, s12
	s_delay_alu instid0(VALU_DEP_1) | instskip(NEXT) | instid1(VALU_DEP_1)
	v_sub_nc_u32_e32 v5, v0, v5
	v_subrev_nc_u32_e32 v9, s12, v5
	v_cmp_le_u32_e32 vcc_lo, s12, v5
	s_delay_alu instid0(VALU_DEP_2) | instskip(NEXT) | instid1(VALU_DEP_1)
	v_dual_cndmask_b32 v5, v5, v9 :: v_dual_add_nc_u32 v8, 1, v3
	v_cndmask_b32_e32 v3, v3, v8, vcc_lo
	s_delay_alu instid0(VALU_DEP_2) | instskip(NEXT) | instid1(VALU_DEP_2)
	v_cmp_le_u32_e32 vcc_lo, s12, v5
	v_add_nc_u32_e32 v8, 1, v3
	s_delay_alu instid0(VALU_DEP_1)
	v_cndmask_b32_e32 v10, v3, v8, vcc_lo
.LBB0_96:
	s_or_b32 exec_lo, exec_lo, s0
	v_mul_u64_e32 v[12:13], s[12:13], v[6:7]
	s_delay_alu instid0(VALU_DEP_2) | instskip(SKIP_1) | instid1(VALU_DEP_2)
	v_min_i64 v[8:9], v[10:11], s[2:3]
	s_mov_b32 s2, 0
	v_add_nc_u64_e32 v[10:11], s[10:11], v[12:13]
	v_cmp_gt_i64_e32 vcc_lo, v[12:13], v[0:1]
	s_delay_alu instid0(VALU_DEP_2) | instskip(SKIP_2) | instid1(SALU_CYCLE_1)
	v_cmp_ge_i64_e64 s0, v[0:1], v[10:11]
	v_mov_b32_e32 v11, s2
	s_or_b32 s0, vcc_lo, s0
	v_cndmask_b32_e64 v10, 0, 1, s0
	s_delay_alu instid0(VALU_DEP_1) | instskip(NEXT) | instid1(VALU_DEP_1)
	v_add_nc_u64_e32 v[6:7], v[6:7], v[10:11]
	v_cmp_le_i64_e32 vcc_lo, v[6:7], v[8:9]
	s_and_b32 exec_lo, exec_lo, vcc_lo
	s_cbranch_execz .LBB0_99
; %bb.97:
	global_load_u8 v10, v2, s[4:5]
	v_mul_u64_e32 v[12:13], s[12:13], v[6:7]
	v_mul_u64_e32 v[14:15], s[16:17], v[6:7]
	v_mov_b32_e32 v3, 0
	s_mul_u64 s[0:1], s[12:13], s[18:19]
	s_delay_alu instid0(SALU_CYCLE_1) | instskip(NEXT) | instid1(VALU_DEP_1)
	s_sub_nc_u64 s[0:1], s[16:17], s[0:1]
	v_mov_b32_e32 v5, v3
	s_delay_alu instid0(VALU_DEP_4) | instskip(NEXT) | instid1(VALU_DEP_1)
	v_sub_nc_u64_e32 v[0:1], v[0:1], v[12:13]
	v_mad_nc_u64_u32 v[12:13], s18, v0, v[14:15]
	s_delay_alu instid0(VALU_DEP_1) | instskip(NEXT) | instid1(VALU_DEP_1)
	v_mad_u32 v0, s19, v0, v13
	v_mad_u32 v13, s18, v1, v0
	v_add_nc_u64_e32 v[0:1], s[4:5], v[2:3]
	s_wait_xcnt 0x0
	v_add_nc_u64_e32 v[2:3], -1, v[6:7]
	s_delay_alu instid0(VALU_DEP_3) | instskip(NEXT) | instid1(VALU_DEP_1)
	v_add_nc_u64_e32 v[4:5], v[12:13], v[4:5]
	v_add_nc_u64_e32 v[4:5], s[6:7], v[4:5]
.LBB0_98:                               ; =>This Inner Loop Header: Depth=1
	global_load_u8 v6, v[4:5], off
	v_add_nc_u64_e32 v[2:3], 1, v[2:3]
	s_wait_xcnt 0x0
	v_add_nc_u64_e32 v[4:5], s[0:1], v[4:5]
	s_delay_alu instid0(VALU_DEP_2)
	v_cmp_ge_i64_e32 vcc_lo, v[2:3], v[8:9]
	s_or_b32 s2, vcc_lo, s2
	s_wait_loadcnt 0x0
	v_add_nc_u16 v10, v6, v10
	global_store_b8 v[0:1], v10, off
	s_wait_xcnt 0x0
	s_and_not1_b32 exec_lo, exec_lo, s2
	s_cbranch_execnz .LBB0_98
.LBB0_99:
	s_endpgm
	.section	.rodata,"a",@progbits
	.p2align	6, 0x0
	.amdhsa_kernel _ZN2at6native12_GLOBAL__N_135_unfold_backward_elementwise_kernelILi256ELi4EZNS1_32_unfold_backward_internal_kernelIhEEvRNS_14TensorIteratorEllllllEUliE_EEviT1_
		.amdhsa_group_segment_fixed_size 0
		.amdhsa_private_segment_fixed_size 0
		.amdhsa_kernarg_size 464
		.amdhsa_user_sgpr_count 2
		.amdhsa_user_sgpr_dispatch_ptr 0
		.amdhsa_user_sgpr_queue_ptr 0
		.amdhsa_user_sgpr_kernarg_segment_ptr 1
		.amdhsa_user_sgpr_dispatch_id 0
		.amdhsa_user_sgpr_kernarg_preload_length 0
		.amdhsa_user_sgpr_kernarg_preload_offset 0
		.amdhsa_user_sgpr_private_segment_size 0
		.amdhsa_wavefront_size32 1
		.amdhsa_uses_dynamic_stack 0
		.amdhsa_enable_private_segment 0
		.amdhsa_system_sgpr_workgroup_id_x 1
		.amdhsa_system_sgpr_workgroup_id_y 0
		.amdhsa_system_sgpr_workgroup_id_z 0
		.amdhsa_system_sgpr_workgroup_info 0
		.amdhsa_system_vgpr_workitem_id 0
		.amdhsa_next_free_vgpr 28
		.amdhsa_next_free_sgpr 56
		.amdhsa_named_barrier_count 0
		.amdhsa_reserve_vcc 1
		.amdhsa_float_round_mode_32 0
		.amdhsa_float_round_mode_16_64 0
		.amdhsa_float_denorm_mode_32 3
		.amdhsa_float_denorm_mode_16_64 3
		.amdhsa_fp16_overflow 0
		.amdhsa_memory_ordered 1
		.amdhsa_forward_progress 1
		.amdhsa_inst_pref_size 76
		.amdhsa_round_robin_scheduling 0
		.amdhsa_exception_fp_ieee_invalid_op 0
		.amdhsa_exception_fp_denorm_src 0
		.amdhsa_exception_fp_ieee_div_zero 0
		.amdhsa_exception_fp_ieee_overflow 0
		.amdhsa_exception_fp_ieee_underflow 0
		.amdhsa_exception_fp_ieee_inexact 0
		.amdhsa_exception_int_div_zero 0
	.end_amdhsa_kernel
	.section	.text._ZN2at6native12_GLOBAL__N_135_unfold_backward_elementwise_kernelILi256ELi4EZNS1_32_unfold_backward_internal_kernelIhEEvRNS_14TensorIteratorEllllllEUliE_EEviT1_,"axG",@progbits,_ZN2at6native12_GLOBAL__N_135_unfold_backward_elementwise_kernelILi256ELi4EZNS1_32_unfold_backward_internal_kernelIhEEvRNS_14TensorIteratorEllllllEUliE_EEviT1_,comdat
.Lfunc_end0:
	.size	_ZN2at6native12_GLOBAL__N_135_unfold_backward_elementwise_kernelILi256ELi4EZNS1_32_unfold_backward_internal_kernelIhEEvRNS_14TensorIteratorEllllllEUliE_EEviT1_, .Lfunc_end0-_ZN2at6native12_GLOBAL__N_135_unfold_backward_elementwise_kernelILi256ELi4EZNS1_32_unfold_backward_internal_kernelIhEEvRNS_14TensorIteratorEllllllEUliE_EEviT1_
                                        ; -- End function
	.set _ZN2at6native12_GLOBAL__N_135_unfold_backward_elementwise_kernelILi256ELi4EZNS1_32_unfold_backward_internal_kernelIhEEvRNS_14TensorIteratorEllllllEUliE_EEviT1_.num_vgpr, 28
	.set _ZN2at6native12_GLOBAL__N_135_unfold_backward_elementwise_kernelILi256ELi4EZNS1_32_unfold_backward_internal_kernelIhEEvRNS_14TensorIteratorEllllllEUliE_EEviT1_.num_agpr, 0
	.set _ZN2at6native12_GLOBAL__N_135_unfold_backward_elementwise_kernelILi256ELi4EZNS1_32_unfold_backward_internal_kernelIhEEvRNS_14TensorIteratorEllllllEUliE_EEviT1_.numbered_sgpr, 56
	.set _ZN2at6native12_GLOBAL__N_135_unfold_backward_elementwise_kernelILi256ELi4EZNS1_32_unfold_backward_internal_kernelIhEEvRNS_14TensorIteratorEllllllEUliE_EEviT1_.num_named_barrier, 0
	.set _ZN2at6native12_GLOBAL__N_135_unfold_backward_elementwise_kernelILi256ELi4EZNS1_32_unfold_backward_internal_kernelIhEEvRNS_14TensorIteratorEllllllEUliE_EEviT1_.private_seg_size, 0
	.set _ZN2at6native12_GLOBAL__N_135_unfold_backward_elementwise_kernelILi256ELi4EZNS1_32_unfold_backward_internal_kernelIhEEvRNS_14TensorIteratorEllllllEUliE_EEviT1_.uses_vcc, 1
	.set _ZN2at6native12_GLOBAL__N_135_unfold_backward_elementwise_kernelILi256ELi4EZNS1_32_unfold_backward_internal_kernelIhEEvRNS_14TensorIteratorEllllllEUliE_EEviT1_.uses_flat_scratch, 0
	.set _ZN2at6native12_GLOBAL__N_135_unfold_backward_elementwise_kernelILi256ELi4EZNS1_32_unfold_backward_internal_kernelIhEEvRNS_14TensorIteratorEllllllEUliE_EEviT1_.has_dyn_sized_stack, 0
	.set _ZN2at6native12_GLOBAL__N_135_unfold_backward_elementwise_kernelILi256ELi4EZNS1_32_unfold_backward_internal_kernelIhEEvRNS_14TensorIteratorEllllllEUliE_EEviT1_.has_recursion, 0
	.set _ZN2at6native12_GLOBAL__N_135_unfold_backward_elementwise_kernelILi256ELi4EZNS1_32_unfold_backward_internal_kernelIhEEvRNS_14TensorIteratorEllllllEUliE_EEviT1_.has_indirect_call, 0
	.section	.AMDGPU.csdata,"",@progbits
; Kernel info:
; codeLenInByte = 9728
; TotalNumSgprs: 58
; NumVgprs: 28
; ScratchSize: 0
; MemoryBound: 0
; FloatMode: 240
; IeeeMode: 1
; LDSByteSize: 0 bytes/workgroup (compile time only)
; SGPRBlocks: 0
; VGPRBlocks: 1
; NumSGPRsForWavesPerEU: 58
; NumVGPRsForWavesPerEU: 28
; NamedBarCnt: 0
; Occupancy: 16
; WaveLimiterHint : 1
; COMPUTE_PGM_RSRC2:SCRATCH_EN: 0
; COMPUTE_PGM_RSRC2:USER_SGPR: 2
; COMPUTE_PGM_RSRC2:TRAP_HANDLER: 0
; COMPUTE_PGM_RSRC2:TGID_X_EN: 1
; COMPUTE_PGM_RSRC2:TGID_Y_EN: 0
; COMPUTE_PGM_RSRC2:TGID_Z_EN: 0
; COMPUTE_PGM_RSRC2:TIDIG_COMP_CNT: 0
	.section	.text._ZN2at6native12_GLOBAL__N_135_unfold_backward_elementwise_kernelILi256ELi4EZNS1_32_unfold_backward_internal_kernelIaEEvRNS_14TensorIteratorEllllllEUliE_EEviT1_,"axG",@progbits,_ZN2at6native12_GLOBAL__N_135_unfold_backward_elementwise_kernelILi256ELi4EZNS1_32_unfold_backward_internal_kernelIaEEvRNS_14TensorIteratorEllllllEUliE_EEviT1_,comdat
	.globl	_ZN2at6native12_GLOBAL__N_135_unfold_backward_elementwise_kernelILi256ELi4EZNS1_32_unfold_backward_internal_kernelIaEEvRNS_14TensorIteratorEllllllEUliE_EEviT1_ ; -- Begin function _ZN2at6native12_GLOBAL__N_135_unfold_backward_elementwise_kernelILi256ELi4EZNS1_32_unfold_backward_internal_kernelIaEEvRNS_14TensorIteratorEllllllEUliE_EEviT1_
	.p2align	8
	.type	_ZN2at6native12_GLOBAL__N_135_unfold_backward_elementwise_kernelILi256ELi4EZNS1_32_unfold_backward_internal_kernelIaEEvRNS_14TensorIteratorEllllllEUliE_EEviT1_,@function
_ZN2at6native12_GLOBAL__N_135_unfold_backward_elementwise_kernelILi256ELi4EZNS1_32_unfold_backward_internal_kernelIaEEvRNS_14TensorIteratorEllllllEUliE_EEviT1_: ; @_ZN2at6native12_GLOBAL__N_135_unfold_backward_elementwise_kernelILi256ELi4EZNS1_32_unfold_backward_internal_kernelIaEEvRNS_14TensorIteratorEllllllEUliE_EEviT1_
; %bb.0:
	s_clause 0x2
	s_load_b128 s[20:23], s[0:1], 0x8
	s_load_b32 s31, s[0:1], 0x0
	s_load_b512 s[4:19], s[0:1], 0x190
	s_bfe_u32 s3, ttmp6, 0x4000c
	s_clause 0x2
	s_load_b96 s[28:30], s[0:1], 0x18
	s_load_b128 s[24:27], s[0:1], 0xcc
	s_load_b64 s[34:35], s[0:1], 0xdc
	s_add_co_i32 s3, s3, 1
	s_and_b32 s2, ttmp6, 15
	s_mul_i32 s3, ttmp9, s3
	s_getreg_b32 s33, hwreg(HW_REG_IB_STS2, 6, 4)
	s_add_co_i32 s2, s2, s3
	s_add_nc_u64 s[40:41], s[0:1], 8
	s_cmp_eq_u32 s33, 0
	s_mov_b32 s37, 0
	s_cselect_b32 s2, ttmp9, s2
	s_mov_b32 s42, -1
	v_lshl_or_b32 v0, s2, 10, v0
	s_mov_b32 s39, s37
	s_wait_kmcnt 0x0
	v_sub_co_u32 v1, s3, s20, 1
	s_mov_b32 s36, s22
	s_xor_b32 s33, s3, -1
	s_mov_b32 s38, s29
	v_readfirstlane_b32 s1, v1
	v_cmp_lt_u32_e32 vcc_lo, 1, v1
	s_add_nc_u64 s[2:3], s[14:15], -1
	s_mov_b32 s29, exec_lo
	s_min_u32 s22, s1, 15
	v_cndmask_b32_e64 v14, 0, 1, vcc_lo
	s_cmp_gt_u32 s20, 1
	s_cselect_b32 s20, -1, 0
	v_cmpx_gt_i32_e64 s31, v0
	s_cbranch_execnz .LBB1_4
; %bb.1:
	s_or_b32 exec_lo, exec_lo, s29
	s_delay_alu instid0(SALU_CYCLE_1)
	s_mov_b32 s29, exec_lo
	v_cmpx_gt_i32_e64 s31, v0
	s_cbranch_execnz .LBB1_28
.LBB1_2:
	s_or_b32 exec_lo, exec_lo, s29
	s_delay_alu instid0(SALU_CYCLE_1)
	s_mov_b32 s29, exec_lo
	v_cmpx_gt_i32_e64 s31, v0
	s_cbranch_execnz .LBB1_52
.LBB1_3:
	s_or_b32 exec_lo, exec_lo, s29
	s_delay_alu instid0(SALU_CYCLE_1)
	s_mov_b32 s0, exec_lo
	v_cmpx_gt_i32_e64 s31, v0
	s_cbranch_execnz .LBB1_76
	s_branch .LBB1_99
.LBB1_4:
	s_and_not1_b32 vcc_lo, exec_lo, vcc_lo
                                        ; implicit-def: $vgpr3
                                        ; implicit-def: $vgpr4
                                        ; implicit-def: $vgpr2
	s_cbranch_vccnz .LBB1_11
; %bb.5:
	v_dual_mov_b32 v3, 0 :: v_dual_mov_b32 v4, 0
	v_mov_b32_e32 v2, 0
	s_and_not1_b32 vcc_lo, exec_lo, s33
	s_cbranch_vccnz .LBB1_10
; %bb.6:
	v_dual_mov_b32 v2, 0 :: v_dual_mov_b32 v1, v0
	v_dual_mov_b32 v4, 0 :: v_dual_mov_b32 v3, 0
	s_add_co_i32 s14, s22, 1
	s_mov_b64 s[0:1], 0xffffffffffffffe8
	s_and_b32 s14, s14, 30
	s_add_nc_u64 s[0:1], s[40:41], s[0:1]
.LBB1_7:                                ; =>This Inner Loop Header: Depth=1
	s_clause 0x1
	s_load_b128 s[44:47], s[0:1], 0x1c
	s_load_b64 s[42:43], s[0:1], 0x2c
	s_add_co_i32 s14, s14, -2
	s_delay_alu instid0(SALU_CYCLE_1) | instskip(SKIP_2) | instid1(VALU_DEP_1)
	s_cmp_lg_u32 s14, 0
	s_wait_kmcnt 0x0
	v_mul_hi_u32 v5, s45, v1
	v_add_nc_u32_e32 v5, v1, v5
	s_delay_alu instid0(VALU_DEP_1) | instskip(NEXT) | instid1(VALU_DEP_1)
	v_lshrrev_b32_e32 v5, s46, v5
	v_mul_hi_u32 v6, s42, v5
	v_mul_lo_u32 v7, v5, s44
	s_clause 0x1
	s_load_b128 s[48:51], s[0:1], 0xdc
	s_load_b64 s[44:45], s[0:1], 0xec
	s_wait_xcnt 0x0
	s_add_nc_u64 s[0:1], s[0:1], 24
	s_delay_alu instid0(VALU_DEP_2) | instskip(NEXT) | instid1(VALU_DEP_1)
	v_add_nc_u32_e32 v6, v5, v6
	v_dual_sub_nc_u32 v7, v1, v7 :: v_dual_lshrrev_b32 v1, s43, v6
	s_wait_kmcnt 0x0
	s_delay_alu instid0(VALU_DEP_1) | instskip(NEXT) | instid1(VALU_DEP_2)
	v_mad_u32 v2, v7, s48, v2
	v_mul_lo_u32 v6, v1, s47
	v_mad_u32 v3, v7, s50, v3
	v_mad_u32 v4, v7, s49, v4
	s_delay_alu instid0(VALU_DEP_3) | instskip(NEXT) | instid1(VALU_DEP_1)
	v_sub_nc_u32_e32 v5, v5, v6
	v_mad_u32 v2, v5, s51, v2
	s_delay_alu instid0(VALU_DEP_4) | instskip(NEXT) | instid1(VALU_DEP_4)
	v_mad_u32 v3, v5, s45, v3
	v_mad_u32 v4, v5, s44, v4
	s_cbranch_scc1 .LBB1_7
; %bb.8:
	s_bitcmp1_b32 s22, 0
	s_cselect_b32 s14, -1, 0
	s_delay_alu instid0(SALU_CYCLE_1)
	s_and_b32 vcc_lo, exec_lo, s14
	s_cbranch_vccnz .LBB1_10
; %bb.9:
	s_clause 0x1
	s_load_b96 s[44:46], s[0:1], 0x1c
	s_load_b96 s[48:50], s[0:1], 0xdc
	s_wait_kmcnt 0x0
	v_mul_hi_u32 v5, s45, v1
	s_delay_alu instid0(VALU_DEP_1) | instskip(NEXT) | instid1(VALU_DEP_1)
	v_add_nc_u32_e32 v5, v1, v5
	v_lshrrev_b32_e32 v5, s46, v5
	s_delay_alu instid0(VALU_DEP_1) | instskip(NEXT) | instid1(VALU_DEP_1)
	v_mul_lo_u32 v5, v5, s44
	v_sub_nc_u32_e32 v1, v1, v5
	s_delay_alu instid0(VALU_DEP_1)
	v_mad_u32 v2, v1, s48, v2
	v_mad_u32 v4, v1, s49, v4
	;; [unrolled: 1-line block ×3, first 2 shown]
.LBB1_10:
	s_mov_b32 s42, 0
.LBB1_11:
	s_delay_alu instid0(SALU_CYCLE_1)
	s_and_not1_b32 vcc_lo, exec_lo, s42
	s_cbranch_vccnz .LBB1_14
; %bb.12:
	v_mov_b32_e32 v1, 0
	s_and_not1_b32 vcc_lo, exec_lo, s20
	s_delay_alu instid0(VALU_DEP_1) | instskip(NEXT) | instid1(VALU_DEP_1)
	v_mul_u64_e32 v[2:3], s[36:37], v[0:1]
	v_add_nc_u32_e32 v2, v0, v3
	s_delay_alu instid0(VALU_DEP_1) | instskip(NEXT) | instid1(VALU_DEP_1)
	v_lshrrev_b32_e32 v6, s23, v2
	v_mul_lo_u32 v2, v6, s21
	s_delay_alu instid0(VALU_DEP_1) | instskip(NEXT) | instid1(VALU_DEP_1)
	v_sub_nc_u32_e32 v4, v0, v2
	v_mul_lo_u32 v2, v4, s24
	v_mul_lo_u32 v3, v4, s26
	;; [unrolled: 1-line block ×3, first 2 shown]
	s_cbranch_vccnz .LBB1_14
; %bb.13:
	v_mov_b32_e32 v7, v1
	s_delay_alu instid0(VALU_DEP_1) | instskip(NEXT) | instid1(VALU_DEP_1)
	v_mul_u64_e32 v[8:9], s[38:39], v[6:7]
	v_add_nc_u32_e32 v1, v6, v9
	s_delay_alu instid0(VALU_DEP_1) | instskip(NEXT) | instid1(VALU_DEP_1)
	v_lshrrev_b32_e32 v1, s30, v1
	v_mul_lo_u32 v1, v1, s28
	s_delay_alu instid0(VALU_DEP_1) | instskip(NEXT) | instid1(VALU_DEP_1)
	v_sub_nc_u32_e32 v1, v6, v1
	v_mad_u32 v2, v1, s27, v2
	v_mad_u32 v4, v1, s34, v4
	;; [unrolled: 1-line block ×3, first 2 shown]
.LBB1_14:
	global_load_b64 v[6:7], v3, s[8:9]
	v_mov_b64_e32 v[8:9], 0
	s_mov_b32 s1, exec_lo
	s_wait_loadcnt 0x0
	v_cmpx_lt_i64_e64 s[10:11], v[6:7]
	s_cbranch_execz .LBB1_20
; %bb.15:
	v_sub_nc_u64_e64 v[12:13], v[6:7], s[10:11]
                                        ; implicit-def: $vgpr8_vgpr9
	s_mov_b32 s0, exec_lo
	s_delay_alu instid0(VALU_DEP_1) | instskip(NEXT) | instid1(VALU_DEP_1)
	v_dual_mov_b32 v10, 0 :: v_dual_bitop2_b32 v11, s13, v13 bitop3:0x54
	v_cmpx_ne_u64_e32 0, v[10:11]
	s_xor_b32 s44, exec_lo, s0
	s_cbranch_execz .LBB1_17
; %bb.16:
	s_ashr_i32 s14, s13, 31
	s_mov_b32 s53, 0
	s_mov_b32 s15, s14
	v_dual_mov_b32 v17, v10 :: v_dual_ashrrev_i32 v8, 31, v13
	s_add_nc_u64 s[42:43], s[12:13], s[14:15]
	v_mov_b32_e32 v19, v10
	s_xor_b64 s[42:43], s[42:43], s[14:15]
	s_delay_alu instid0(VALU_DEP_2)
	v_mov_b32_e32 v9, v8
	s_cvt_f32_u32 s0, s42
	s_cvt_f32_u32 s15, s43
	s_sub_nc_u64 s[48:49], 0, s[42:43]
	v_mov_b32_e32 v25, v10
	v_add_nc_u64_e32 v[12:13], v[12:13], v[8:9]
	s_fmamk_f32 s0, s15, 0x4f800000, s0
	v_mov_b32_e32 v11, v10
	s_delay_alu instid0(SALU_CYCLE_2) | instskip(NEXT) | instid1(VALU_DEP_2)
	v_s_rcp_f32 s0, s0
	v_xor_b32_e32 v16, v12, v8
	s_delay_alu instid0(VALU_DEP_3) | instskip(SKIP_1) | instid1(TRANS32_DEP_1)
	v_xor_b32_e32 v18, v13, v8
	v_xor_b32_e32 v8, s14, v8
	s_mul_f32 s0, s0, 0x5f7ffffc
	s_delay_alu instid0(SALU_CYCLE_3) | instskip(NEXT) | instid1(SALU_CYCLE_3)
	s_mul_f32 s15, s0, 0x2f800000
	s_trunc_f32 s15, s15
	s_delay_alu instid0(SALU_CYCLE_3) | instskip(SKIP_1) | instid1(SALU_CYCLE_2)
	s_fmamk_f32 s0, s15, 0xcf800000, s0
	s_cvt_u32_f32 s47, s15
	s_cvt_u32_f32 s46, s0
	s_delay_alu instid0(SALU_CYCLE_3) | instskip(NEXT) | instid1(SALU_CYCLE_1)
	s_mul_u64 s[50:51], s[48:49], s[46:47]
	s_mul_hi_u32 s55, s46, s51
	s_mul_i32 s54, s46, s51
	s_mul_hi_u32 s52, s46, s50
	s_mul_i32 s15, s47, s50
	s_add_nc_u64 s[54:55], s[52:53], s[54:55]
	s_mul_hi_u32 s0, s47, s50
	s_mul_hi_u32 s45, s47, s51
	s_add_co_u32 s15, s54, s15
	s_add_co_ci_u32 s52, s55, s0
	s_mul_i32 s50, s47, s51
	s_add_co_ci_u32 s51, s45, 0
	s_delay_alu instid0(SALU_CYCLE_1) | instskip(NEXT) | instid1(SALU_CYCLE_1)
	s_add_nc_u64 s[50:51], s[52:53], s[50:51]
	s_add_co_u32 s46, s46, s50
	s_cselect_b32 s0, -1, 0
	s_delay_alu instid0(SALU_CYCLE_1) | instskip(SKIP_1) | instid1(SALU_CYCLE_1)
	s_cmp_lg_u32 s0, 0
	s_add_co_ci_u32 s47, s47, s51
	s_mul_u64 s[48:49], s[48:49], s[46:47]
	s_delay_alu instid0(SALU_CYCLE_1)
	s_mul_hi_u32 s51, s46, s49
	s_mul_i32 s50, s46, s49
	s_mul_hi_u32 s52, s46, s48
	s_mul_i32 s15, s47, s48
	s_add_nc_u64 s[50:51], s[52:53], s[50:51]
	s_mul_hi_u32 s0, s47, s48
	s_mul_hi_u32 s45, s47, s49
	s_add_co_u32 s15, s50, s15
	s_add_co_ci_u32 s52, s51, s0
	s_mul_i32 s48, s47, s49
	s_add_co_ci_u32 s49, s45, 0
	s_delay_alu instid0(SALU_CYCLE_1) | instskip(NEXT) | instid1(SALU_CYCLE_1)
	s_add_nc_u64 s[48:49], s[52:53], s[48:49]
	s_add_co_u32 s0, s46, s48
	s_cselect_b32 s15, -1, 0
	v_mul_hi_u32 v24, v16, s0
	s_cmp_lg_u32 s15, 0
	s_add_co_ci_u32 s52, s47, s49
	s_mov_b64 s[46:47], 0xffffffff
	v_mul_u64_e32 v[20:21], s[52:53], v[16:17]
	s_and_b64 s[46:47], s[0:1], s[46:47]
	v_mul_u64_e32 v[22:23], s[52:53], v[18:19]
	v_mul_u64_e32 v[12:13], s[46:47], v[18:19]
	s_delay_alu instid0(VALU_DEP_3) | instskip(NEXT) | instid1(VALU_DEP_1)
	v_add_nc_u64_e32 v[20:21], v[24:25], v[20:21]
	v_add_co_u32 v1, vcc_lo, v20, v12
	s_delay_alu instid0(VALU_DEP_2) | instskip(SKIP_1) | instid1(VALU_DEP_1)
	v_add_co_ci_u32_e32 v10, vcc_lo, v21, v13, vcc_lo
	v_add_co_ci_u32_e32 v23, vcc_lo, 0, v23, vcc_lo
	v_add_nc_u64_e32 v[10:11], v[10:11], v[22:23]
	s_delay_alu instid0(VALU_DEP_1) | instskip(NEXT) | instid1(VALU_DEP_1)
	v_mul_u64_e32 v[12:13], s[42:43], v[10:11]
	v_sub_nc_u32_e32 v1, v18, v13
	s_delay_alu instid0(VALU_DEP_2) | instskip(NEXT) | instid1(VALU_DEP_1)
	v_sub_co_u32 v3, vcc_lo, v16, v12
	v_sub_co_ci_u32_e64 v9, null, v18, v13, vcc_lo
	s_delay_alu instid0(VALU_DEP_3) | instskip(NEXT) | instid1(VALU_DEP_3)
	v_subrev_co_ci_u32_e64 v1, null, s43, v1, vcc_lo
	v_sub_co_u32 v5, s0, v3, s42
	v_add_nc_u64_e32 v[16:17], 1, v[10:11]
	s_delay_alu instid0(VALU_DEP_3) | instskip(NEXT) | instid1(VALU_DEP_3)
	v_subrev_co_ci_u32_e64 v1, null, 0, v1, s0
	v_cmp_le_u32_e32 vcc_lo, s42, v5
	v_cndmask_b32_e64 v5, 0, -1, vcc_lo
	s_delay_alu instid0(VALU_DEP_3)
	v_cmp_le_u32_e32 vcc_lo, s43, v1
	v_cndmask_b32_e64 v12, 0, -1, vcc_lo
	v_cmp_le_u32_e32 vcc_lo, s42, v3
	v_cndmask_b32_e64 v3, 0, -1, vcc_lo
	;; [unrolled: 2-line block ×3, first 2 shown]
	v_cmp_eq_u32_e32 vcc_lo, s43, v1
	v_cndmask_b32_e32 v1, v12, v5, vcc_lo
	v_cmp_eq_u32_e32 vcc_lo, s43, v9
	v_add_nc_u64_e32 v[12:13], 2, v[10:11]
	v_cndmask_b32_e32 v3, v15, v3, vcc_lo
	s_delay_alu instid0(VALU_DEP_4) | instskip(NEXT) | instid1(VALU_DEP_2)
	v_cmp_ne_u32_e32 vcc_lo, 0, v1
	v_cmp_ne_u32_e64 s0, 0, v3
	s_delay_alu instid0(VALU_DEP_4) | instskip(NEXT) | instid1(VALU_DEP_1)
	v_dual_cndmask_b32 v1, v17, v13, vcc_lo :: v_dual_cndmask_b32 v3, v16, v12, vcc_lo
                                        ; implicit-def: $vgpr12_vgpr13
	v_dual_cndmask_b32 v1, v11, v1, s0 :: v_dual_cndmask_b32 v3, v10, v3, s0
	s_delay_alu instid0(VALU_DEP_1) | instskip(NEXT) | instid1(VALU_DEP_2)
	v_dual_mov_b32 v9, v8 :: v_dual_bitop2_b32 v11, v1, v8 bitop3:0x14
	v_xor_b32_e32 v10, v3, v8
	s_delay_alu instid0(VALU_DEP_1)
	v_sub_nc_u64_e32 v[8:9], v[10:11], v[8:9]
.LBB1_17:
	s_and_not1_saveexec_b32 s0, s44
	s_cbranch_execz .LBB1_19
; %bb.18:
	v_cvt_f32_u32_e32 v1, s12
	s_sub_co_i32 s14, 0, s12
	v_mov_b32_e32 v9, 0
	s_delay_alu instid0(VALU_DEP_2) | instskip(SKIP_1) | instid1(TRANS32_DEP_1)
	v_rcp_iflag_f32_e32 v1, v1
	v_nop
	v_mul_f32_e32 v1, 0x4f7ffffe, v1
	s_delay_alu instid0(VALU_DEP_1) | instskip(NEXT) | instid1(VALU_DEP_1)
	v_cvt_u32_f32_e32 v1, v1
	v_mul_lo_u32 v3, s14, v1
	s_delay_alu instid0(VALU_DEP_1) | instskip(NEXT) | instid1(VALU_DEP_1)
	v_mul_hi_u32 v3, v1, v3
	v_add_nc_u32_e32 v1, v1, v3
	s_delay_alu instid0(VALU_DEP_1) | instskip(NEXT) | instid1(VALU_DEP_1)
	v_mul_hi_u32 v1, v12, v1
	v_mul_lo_u32 v3, v1, s12
	s_delay_alu instid0(VALU_DEP_1) | instskip(NEXT) | instid1(VALU_DEP_1)
	v_sub_nc_u32_e32 v3, v12, v3
	v_subrev_nc_u32_e32 v8, s12, v3
	v_cmp_le_u32_e32 vcc_lo, s12, v3
	s_delay_alu instid0(VALU_DEP_2) | instskip(NEXT) | instid1(VALU_DEP_1)
	v_dual_add_nc_u32 v5, 1, v1 :: v_dual_cndmask_b32 v3, v3, v8, vcc_lo
	v_cndmask_b32_e32 v1, v1, v5, vcc_lo
	s_delay_alu instid0(VALU_DEP_2) | instskip(NEXT) | instid1(VALU_DEP_2)
	v_cmp_le_u32_e32 vcc_lo, s12, v3
	v_add_nc_u32_e32 v5, 1, v1
	s_delay_alu instid0(VALU_DEP_1)
	v_cndmask_b32_e32 v8, v1, v5, vcc_lo
.LBB1_19:
	s_or_b32 exec_lo, exec_lo, s0
.LBB1_20:
	s_delay_alu instid0(SALU_CYCLE_1) | instskip(SKIP_2) | instid1(VALU_DEP_1)
	s_or_b32 exec_lo, exec_lo, s1
	v_dual_mov_b32 v10, 0 :: v_dual_bitop2_b32 v11, s13, v7 bitop3:0x54
                                        ; implicit-def: $vgpr12_vgpr13
	s_mov_b32 s0, exec_lo
	v_cmpx_ne_u64_e32 0, v[10:11]
	s_xor_b32 s1, exec_lo, s0
	s_cbranch_execz .LBB1_22
; %bb.21:
	s_ashr_i32 s14, s13, 31
	s_mov_b32 s51, 0
	s_mov_b32 s15, s14
	v_dual_mov_b32 v19, v10 :: v_dual_ashrrev_i32 v12, 31, v7
	s_add_nc_u64 s[42:43], s[12:13], s[14:15]
	v_mov_b32_e32 v21, v10
	s_xor_b64 s[42:43], s[42:43], s[14:15]
	s_delay_alu instid0(VALU_DEP_2)
	v_mov_b32_e32 v13, v12
	s_cvt_f32_u32 s0, s42
	s_cvt_f32_u32 s15, s43
	s_sub_nc_u64 s[46:47], 0, s[42:43]
	v_mov_b32_e32 v27, v10
	v_add_nc_u64_e32 v[16:17], v[6:7], v[12:13]
	s_fmamk_f32 s0, s15, 0x4f800000, s0
	v_mov_b32_e32 v11, v10
	s_delay_alu instid0(SALU_CYCLE_2) | instskip(NEXT) | instid1(VALU_DEP_2)
	v_s_rcp_f32 s0, s0
	v_xor_b32_e32 v18, v16, v12
	s_delay_alu instid0(VALU_DEP_3) | instskip(SKIP_1) | instid1(TRANS32_DEP_1)
	v_xor_b32_e32 v20, v17, v12
	v_xor_b32_e32 v12, s14, v12
	s_mul_f32 s0, s0, 0x5f7ffffc
	s_delay_alu instid0(SALU_CYCLE_3) | instskip(NEXT) | instid1(SALU_CYCLE_3)
	s_mul_f32 s15, s0, 0x2f800000
	s_trunc_f32 s15, s15
	s_delay_alu instid0(SALU_CYCLE_3) | instskip(SKIP_1) | instid1(SALU_CYCLE_2)
	s_fmamk_f32 s0, s15, 0xcf800000, s0
	s_cvt_u32_f32 s45, s15
	s_cvt_u32_f32 s44, s0
	s_delay_alu instid0(SALU_CYCLE_3) | instskip(NEXT) | instid1(SALU_CYCLE_1)
	s_mul_u64 s[48:49], s[46:47], s[44:45]
	s_mul_hi_u32 s53, s44, s49
	s_mul_i32 s52, s44, s49
	s_mul_hi_u32 s50, s44, s48
	s_mul_i32 s15, s45, s48
	s_add_nc_u64 s[52:53], s[50:51], s[52:53]
	s_mul_hi_u32 s0, s45, s48
	s_mul_hi_u32 s54, s45, s49
	s_add_co_u32 s15, s52, s15
	s_add_co_ci_u32 s50, s53, s0
	s_mul_i32 s48, s45, s49
	s_add_co_ci_u32 s49, s54, 0
	s_delay_alu instid0(SALU_CYCLE_1) | instskip(NEXT) | instid1(SALU_CYCLE_1)
	s_add_nc_u64 s[48:49], s[50:51], s[48:49]
	s_add_co_u32 s44, s44, s48
	s_cselect_b32 s0, -1, 0
	s_delay_alu instid0(SALU_CYCLE_1) | instskip(SKIP_1) | instid1(SALU_CYCLE_1)
	s_cmp_lg_u32 s0, 0
	s_add_co_ci_u32 s45, s45, s49
	s_mul_u64 s[46:47], s[46:47], s[44:45]
	s_delay_alu instid0(SALU_CYCLE_1)
	s_mul_hi_u32 s49, s44, s47
	s_mul_i32 s48, s44, s47
	s_mul_hi_u32 s50, s44, s46
	s_mul_i32 s15, s45, s46
	s_add_nc_u64 s[48:49], s[50:51], s[48:49]
	s_mul_hi_u32 s0, s45, s46
	s_mul_hi_u32 s52, s45, s47
	s_add_co_u32 s15, s48, s15
	s_add_co_ci_u32 s50, s49, s0
	s_mul_i32 s46, s45, s47
	s_add_co_ci_u32 s47, s52, 0
	s_delay_alu instid0(SALU_CYCLE_1) | instskip(NEXT) | instid1(SALU_CYCLE_1)
	s_add_nc_u64 s[46:47], s[50:51], s[46:47]
	s_add_co_u32 s0, s44, s46
	s_cselect_b32 s15, -1, 0
	v_mul_hi_u32 v26, v18, s0
	s_cmp_lg_u32 s15, 0
	s_add_co_ci_u32 s50, s45, s47
	s_mov_b64 s[44:45], 0xffffffff
	v_mul_u64_e32 v[22:23], s[50:51], v[18:19]
	s_and_b64 s[44:45], s[0:1], s[44:45]
	v_mul_u64_e32 v[24:25], s[50:51], v[20:21]
	v_mul_u64_e32 v[16:17], s[44:45], v[20:21]
	s_delay_alu instid0(VALU_DEP_3) | instskip(NEXT) | instid1(VALU_DEP_1)
	v_add_nc_u64_e32 v[22:23], v[26:27], v[22:23]
	v_add_co_u32 v1, vcc_lo, v22, v16
	s_delay_alu instid0(VALU_DEP_2) | instskip(SKIP_1) | instid1(VALU_DEP_1)
	v_add_co_ci_u32_e32 v10, vcc_lo, v23, v17, vcc_lo
	v_add_co_ci_u32_e32 v25, vcc_lo, 0, v25, vcc_lo
	v_add_nc_u64_e32 v[10:11], v[10:11], v[24:25]
	s_delay_alu instid0(VALU_DEP_1) | instskip(NEXT) | instid1(VALU_DEP_1)
	v_mul_u64_e32 v[16:17], s[42:43], v[10:11]
	v_sub_nc_u32_e32 v1, v20, v17
	s_delay_alu instid0(VALU_DEP_2) | instskip(NEXT) | instid1(VALU_DEP_1)
	v_sub_co_u32 v3, vcc_lo, v18, v16
	v_sub_co_ci_u32_e64 v13, null, v20, v17, vcc_lo
	s_delay_alu instid0(VALU_DEP_3) | instskip(NEXT) | instid1(VALU_DEP_3)
	v_subrev_co_ci_u32_e64 v1, null, s43, v1, vcc_lo
	v_sub_co_u32 v5, s0, v3, s42
	v_add_nc_u64_e32 v[16:17], 2, v[10:11]
	s_delay_alu instid0(VALU_DEP_3) | instskip(NEXT) | instid1(VALU_DEP_3)
	v_subrev_co_ci_u32_e64 v1, null, 0, v1, s0
	v_cmp_le_u32_e32 vcc_lo, s42, v5
	v_add_nc_u64_e32 v[18:19], 1, v[10:11]
	v_cndmask_b32_e64 v5, 0, -1, vcc_lo
	s_delay_alu instid0(VALU_DEP_4)
	v_cmp_le_u32_e32 vcc_lo, s43, v1
	v_cndmask_b32_e64 v15, 0, -1, vcc_lo
	v_cmp_le_u32_e32 vcc_lo, s42, v3
	v_cndmask_b32_e64 v3, 0, -1, vcc_lo
	;; [unrolled: 2-line block ×3, first 2 shown]
	v_cmp_eq_u32_e32 vcc_lo, s43, v1
	v_cndmask_b32_e32 v1, v15, v5, vcc_lo
	v_cmp_eq_u32_e32 vcc_lo, s43, v13
	s_delay_alu instid0(VALU_DEP_4) | instskip(NEXT) | instid1(VALU_DEP_3)
	v_cndmask_b32_e32 v3, v20, v3, vcc_lo
	v_cmp_ne_u32_e32 vcc_lo, 0, v1
	s_delay_alu instid0(VALU_DEP_2) | instskip(SKIP_1) | instid1(VALU_DEP_1)
	v_cmp_ne_u32_e64 s0, 0, v3
	v_dual_cndmask_b32 v1, v19, v17, vcc_lo :: v_dual_cndmask_b32 v3, v18, v16, vcc_lo
	v_dual_cndmask_b32 v1, v11, v1, s0 :: v_dual_cndmask_b32 v3, v10, v3, s0
	s_delay_alu instid0(VALU_DEP_1) | instskip(NEXT) | instid1(VALU_DEP_2)
	v_dual_mov_b32 v13, v12 :: v_dual_bitop2_b32 v11, v1, v12 bitop3:0x14
	v_xor_b32_e32 v10, v3, v12
	s_delay_alu instid0(VALU_DEP_1)
	v_sub_nc_u64_e32 v[12:13], v[10:11], v[12:13]
.LBB1_22:
	s_and_not1_saveexec_b32 s0, s1
	s_cbranch_execz .LBB1_24
; %bb.23:
	v_cvt_f32_u32_e32 v1, s12
	s_sub_co_i32 s1, 0, s12
	v_mov_b32_e32 v13, 0
	s_delay_alu instid0(VALU_DEP_2) | instskip(SKIP_1) | instid1(TRANS32_DEP_1)
	v_rcp_iflag_f32_e32 v1, v1
	v_nop
	v_mul_f32_e32 v1, 0x4f7ffffe, v1
	s_delay_alu instid0(VALU_DEP_1) | instskip(NEXT) | instid1(VALU_DEP_1)
	v_cvt_u32_f32_e32 v1, v1
	v_mul_lo_u32 v3, s1, v1
	s_delay_alu instid0(VALU_DEP_1) | instskip(NEXT) | instid1(VALU_DEP_1)
	v_mul_hi_u32 v3, v1, v3
	v_add_nc_u32_e32 v1, v1, v3
	s_delay_alu instid0(VALU_DEP_1) | instskip(NEXT) | instid1(VALU_DEP_1)
	v_mul_hi_u32 v1, v6, v1
	v_mul_lo_u32 v3, v1, s12
	s_delay_alu instid0(VALU_DEP_1) | instskip(NEXT) | instid1(VALU_DEP_1)
	v_sub_nc_u32_e32 v3, v6, v3
	v_subrev_nc_u32_e32 v10, s12, v3
	v_cmp_le_u32_e32 vcc_lo, s12, v3
	s_delay_alu instid0(VALU_DEP_2) | instskip(NEXT) | instid1(VALU_DEP_1)
	v_dual_add_nc_u32 v5, 1, v1 :: v_dual_cndmask_b32 v3, v3, v10, vcc_lo
	v_cndmask_b32_e32 v1, v1, v5, vcc_lo
	s_delay_alu instid0(VALU_DEP_2) | instskip(NEXT) | instid1(VALU_DEP_2)
	v_cmp_le_u32_e32 vcc_lo, s12, v3
	v_add_nc_u32_e32 v5, 1, v1
	s_delay_alu instid0(VALU_DEP_1)
	v_cndmask_b32_e32 v12, v1, v5, vcc_lo
.LBB1_24:
	s_or_b32 exec_lo, exec_lo, s0
	v_mul_u64_e32 v[16:17], s[12:13], v[8:9]
	s_delay_alu instid0(VALU_DEP_2) | instskip(SKIP_2) | instid1(VALU_DEP_2)
	v_min_i64 v[10:11], v[12:13], s[2:3]
	s_mov_b32 s14, 0
	s_mov_b32 s15, exec_lo
	v_add_nc_u64_e32 v[12:13], s[10:11], v[16:17]
	v_cmp_gt_i64_e32 vcc_lo, v[16:17], v[6:7]
	s_delay_alu instid0(VALU_DEP_2) | instskip(SKIP_2) | instid1(SALU_CYCLE_1)
	v_cmp_ge_i64_e64 s0, v[6:7], v[12:13]
	v_mov_b32_e32 v13, s14
	s_or_b32 s0, vcc_lo, s0
	v_cndmask_b32_e64 v12, 0, 1, s0
	s_delay_alu instid0(VALU_DEP_1) | instskip(NEXT) | instid1(VALU_DEP_1)
	v_add_nc_u64_e32 v[8:9], v[8:9], v[12:13]
	v_cmpx_le_i64_e64 v[8:9], v[10:11]
	s_cbranch_execz .LBB1_27
; %bb.25:
	global_load_u8 v1, v2, s[4:5]
	v_mul_u64_e32 v[12:13], s[12:13], v[8:9]
	v_mul_u64_e32 v[16:17], s[16:17], v[8:9]
	s_mul_u64 s[0:1], s[12:13], s[18:19]
	s_delay_alu instid0(SALU_CYCLE_1) | instskip(NEXT) | instid1(VALU_DEP_2)
	s_sub_nc_u64 s[0:1], s[16:17], s[0:1]
	v_sub_nc_u64_e32 v[6:7], v[6:7], v[12:13]
	s_delay_alu instid0(VALU_DEP_1) | instskip(NEXT) | instid1(VALU_DEP_1)
	v_mad_nc_u64_u32 v[12:13], s18, v6, v[16:17]
	v_mad_u32 v3, s19, v6, v13
	s_delay_alu instid0(VALU_DEP_1) | instskip(SKIP_1) | instid1(VALU_DEP_1)
	v_mad_u32 v13, s18, v7, v3
	v_mov_b32_e32 v3, 0
	v_mov_b32_e32 v5, v3
	s_wait_xcnt 0x0
	v_add_nc_u64_e32 v[2:3], s[4:5], v[2:3]
	s_delay_alu instid0(VALU_DEP_2) | instskip(SKIP_1) | instid1(VALU_DEP_2)
	v_add_nc_u64_e32 v[6:7], v[12:13], v[4:5]
	v_add_nc_u64_e32 v[4:5], -1, v[8:9]
	v_add_nc_u64_e32 v[6:7], s[6:7], v[6:7]
.LBB1_26:                               ; =>This Inner Loop Header: Depth=1
	global_load_u8 v8, v[6:7], off
	v_add_nc_u64_e32 v[4:5], 1, v[4:5]
	s_wait_xcnt 0x0
	v_add_nc_u64_e32 v[6:7], s[0:1], v[6:7]
	s_delay_alu instid0(VALU_DEP_2)
	v_cmp_ge_i64_e32 vcc_lo, v[4:5], v[10:11]
	s_or_b32 s14, vcc_lo, s14
	s_wait_loadcnt 0x0
	v_add_nc_u16 v1, v8, v1
	global_store_b8 v[2:3], v1, off
	s_wait_xcnt 0x0
	s_and_not1_b32 exec_lo, exec_lo, s14
	s_cbranch_execnz .LBB1_26
.LBB1_27:
	s_or_b32 exec_lo, exec_lo, s15
	v_add_nc_u32_e32 v0, 0x100, v0
	s_or_b32 exec_lo, exec_lo, s29
	s_delay_alu instid0(SALU_CYCLE_1) | instskip(NEXT) | instid1(VALU_DEP_1)
	s_mov_b32 s29, exec_lo
	v_cmpx_gt_i32_e64 s31, v0
	s_cbranch_execz .LBB1_2
.LBB1_28:
	v_cmp_ne_u32_e32 vcc_lo, 1, v14
	s_cbranch_vccnz .LBB1_35
; %bb.29:
	v_dual_mov_b32 v3, 0 :: v_dual_mov_b32 v4, 0
	v_mov_b32_e32 v2, 0
	s_and_not1_b32 vcc_lo, exec_lo, s33
	s_cbranch_vccnz .LBB1_34
; %bb.30:
	v_dual_mov_b32 v2, 0 :: v_dual_mov_b32 v1, v0
	v_dual_mov_b32 v4, 0 :: v_dual_mov_b32 v3, 0
	s_add_co_i32 s14, s22, 1
	s_mov_b64 s[0:1], 0xffffffffffffffe8
	s_and_b32 s14, s14, 30
	s_add_nc_u64 s[0:1], s[40:41], s[0:1]
.LBB1_31:                               ; =>This Inner Loop Header: Depth=1
	s_clause 0x1
	s_load_b128 s[44:47], s[0:1], 0x1c
	s_load_b64 s[42:43], s[0:1], 0x2c
	s_add_co_i32 s14, s14, -2
	s_delay_alu instid0(SALU_CYCLE_1) | instskip(SKIP_2) | instid1(VALU_DEP_1)
	s_cmp_eq_u32 s14, 0
	s_wait_kmcnt 0x0
	v_mul_hi_u32 v5, s45, v1
	v_add_nc_u32_e32 v5, v1, v5
	s_delay_alu instid0(VALU_DEP_1) | instskip(NEXT) | instid1(VALU_DEP_1)
	v_lshrrev_b32_e32 v5, s46, v5
	v_mul_hi_u32 v6, s42, v5
	v_mul_lo_u32 v7, v5, s44
	s_clause 0x1
	s_load_b128 s[48:51], s[0:1], 0xdc
	s_load_b64 s[44:45], s[0:1], 0xec
	s_wait_xcnt 0x0
	s_add_nc_u64 s[0:1], s[0:1], 24
	s_delay_alu instid0(VALU_DEP_2) | instskip(NEXT) | instid1(VALU_DEP_1)
	v_add_nc_u32_e32 v6, v5, v6
	v_dual_sub_nc_u32 v7, v1, v7 :: v_dual_lshrrev_b32 v1, s43, v6
	s_wait_kmcnt 0x0
	s_delay_alu instid0(VALU_DEP_1) | instskip(NEXT) | instid1(VALU_DEP_2)
	v_mad_u32 v2, v7, s48, v2
	v_mul_lo_u32 v6, v1, s47
	v_mad_u32 v3, v7, s50, v3
	v_mad_u32 v4, v7, s49, v4
	s_delay_alu instid0(VALU_DEP_3) | instskip(NEXT) | instid1(VALU_DEP_1)
	v_sub_nc_u32_e32 v5, v5, v6
	v_mad_u32 v2, v5, s51, v2
	s_delay_alu instid0(VALU_DEP_4) | instskip(NEXT) | instid1(VALU_DEP_4)
	v_mad_u32 v3, v5, s45, v3
	v_mad_u32 v4, v5, s44, v4
	s_cbranch_scc0 .LBB1_31
; %bb.32:
	s_bitcmp1_b32 s22, 0
	s_cselect_b32 s14, -1, 0
	s_delay_alu instid0(SALU_CYCLE_1)
	s_and_b32 vcc_lo, exec_lo, s14
	s_cbranch_vccnz .LBB1_34
; %bb.33:
	s_clause 0x1
	s_load_b96 s[44:46], s[0:1], 0x1c
	s_load_b96 s[48:50], s[0:1], 0xdc
	s_wait_kmcnt 0x0
	v_mul_hi_u32 v5, s45, v1
	s_delay_alu instid0(VALU_DEP_1) | instskip(NEXT) | instid1(VALU_DEP_1)
	v_add_nc_u32_e32 v5, v1, v5
	v_lshrrev_b32_e32 v5, s46, v5
	s_delay_alu instid0(VALU_DEP_1) | instskip(NEXT) | instid1(VALU_DEP_1)
	v_mul_lo_u32 v5, v5, s44
	v_sub_nc_u32_e32 v1, v1, v5
	s_delay_alu instid0(VALU_DEP_1)
	v_mad_u32 v2, v1, s48, v2
	v_mad_u32 v4, v1, s49, v4
	;; [unrolled: 1-line block ×3, first 2 shown]
.LBB1_34:
	s_cbranch_execz .LBB1_36
	s_branch .LBB1_38
.LBB1_35:
                                        ; implicit-def: $vgpr3
                                        ; implicit-def: $vgpr4
                                        ; implicit-def: $vgpr2
.LBB1_36:
	v_mov_b32_e32 v1, 0
	s_and_not1_b32 vcc_lo, exec_lo, s20
	s_delay_alu instid0(VALU_DEP_1) | instskip(NEXT) | instid1(VALU_DEP_1)
	v_mul_u64_e32 v[2:3], s[36:37], v[0:1]
	v_add_nc_u32_e32 v2, v0, v3
	s_delay_alu instid0(VALU_DEP_1) | instskip(NEXT) | instid1(VALU_DEP_1)
	v_lshrrev_b32_e32 v6, s23, v2
	v_mul_lo_u32 v2, v6, s21
	s_delay_alu instid0(VALU_DEP_1) | instskip(NEXT) | instid1(VALU_DEP_1)
	v_sub_nc_u32_e32 v4, v0, v2
	v_mul_lo_u32 v2, v4, s24
	v_mul_lo_u32 v3, v4, s26
	;; [unrolled: 1-line block ×3, first 2 shown]
	s_cbranch_vccnz .LBB1_38
; %bb.37:
	v_mov_b32_e32 v7, v1
	s_delay_alu instid0(VALU_DEP_1) | instskip(NEXT) | instid1(VALU_DEP_1)
	v_mul_u64_e32 v[8:9], s[38:39], v[6:7]
	v_add_nc_u32_e32 v1, v6, v9
	s_delay_alu instid0(VALU_DEP_1) | instskip(NEXT) | instid1(VALU_DEP_1)
	v_lshrrev_b32_e32 v1, s30, v1
	v_mul_lo_u32 v1, v1, s28
	s_delay_alu instid0(VALU_DEP_1) | instskip(NEXT) | instid1(VALU_DEP_1)
	v_sub_nc_u32_e32 v1, v6, v1
	v_mad_u32 v2, v1, s27, v2
	v_mad_u32 v4, v1, s34, v4
	;; [unrolled: 1-line block ×3, first 2 shown]
.LBB1_38:
	global_load_b64 v[6:7], v3, s[8:9]
	v_mov_b64_e32 v[8:9], 0
	s_mov_b32 s1, exec_lo
	s_wait_loadcnt 0x0
	v_cmpx_lt_i64_e64 s[10:11], v[6:7]
	s_cbranch_execz .LBB1_44
; %bb.39:
	v_sub_nc_u64_e64 v[12:13], v[6:7], s[10:11]
                                        ; implicit-def: $vgpr8_vgpr9
	s_mov_b32 s0, exec_lo
	s_delay_alu instid0(VALU_DEP_1) | instskip(NEXT) | instid1(VALU_DEP_1)
	v_dual_mov_b32 v10, 0 :: v_dual_bitop2_b32 v11, s13, v13 bitop3:0x54
	v_cmpx_ne_u64_e32 0, v[10:11]
	s_xor_b32 s44, exec_lo, s0
	s_cbranch_execz .LBB1_41
; %bb.40:
	s_ashr_i32 s14, s13, 31
	s_mov_b32 s53, 0
	s_mov_b32 s15, s14
	v_dual_mov_b32 v17, v10 :: v_dual_ashrrev_i32 v8, 31, v13
	s_add_nc_u64 s[42:43], s[12:13], s[14:15]
	v_mov_b32_e32 v19, v10
	s_xor_b64 s[42:43], s[42:43], s[14:15]
	s_delay_alu instid0(VALU_DEP_2)
	v_mov_b32_e32 v9, v8
	s_cvt_f32_u32 s0, s42
	s_cvt_f32_u32 s15, s43
	s_sub_nc_u64 s[48:49], 0, s[42:43]
	v_mov_b32_e32 v25, v10
	v_add_nc_u64_e32 v[12:13], v[12:13], v[8:9]
	s_fmamk_f32 s0, s15, 0x4f800000, s0
	v_mov_b32_e32 v11, v10
	s_delay_alu instid0(SALU_CYCLE_2) | instskip(NEXT) | instid1(VALU_DEP_2)
	v_s_rcp_f32 s0, s0
	v_xor_b32_e32 v16, v12, v8
	s_delay_alu instid0(VALU_DEP_3) | instskip(SKIP_1) | instid1(TRANS32_DEP_1)
	v_xor_b32_e32 v18, v13, v8
	v_xor_b32_e32 v8, s14, v8
	s_mul_f32 s0, s0, 0x5f7ffffc
	s_delay_alu instid0(SALU_CYCLE_3) | instskip(NEXT) | instid1(SALU_CYCLE_3)
	s_mul_f32 s15, s0, 0x2f800000
	s_trunc_f32 s15, s15
	s_delay_alu instid0(SALU_CYCLE_3) | instskip(SKIP_1) | instid1(SALU_CYCLE_2)
	s_fmamk_f32 s0, s15, 0xcf800000, s0
	s_cvt_u32_f32 s47, s15
	s_cvt_u32_f32 s46, s0
	s_delay_alu instid0(SALU_CYCLE_3) | instskip(NEXT) | instid1(SALU_CYCLE_1)
	s_mul_u64 s[50:51], s[48:49], s[46:47]
	s_mul_hi_u32 s55, s46, s51
	s_mul_i32 s54, s46, s51
	s_mul_hi_u32 s52, s46, s50
	s_mul_i32 s15, s47, s50
	s_add_nc_u64 s[54:55], s[52:53], s[54:55]
	s_mul_hi_u32 s0, s47, s50
	s_mul_hi_u32 s45, s47, s51
	s_add_co_u32 s15, s54, s15
	s_add_co_ci_u32 s52, s55, s0
	s_mul_i32 s50, s47, s51
	s_add_co_ci_u32 s51, s45, 0
	s_delay_alu instid0(SALU_CYCLE_1) | instskip(NEXT) | instid1(SALU_CYCLE_1)
	s_add_nc_u64 s[50:51], s[52:53], s[50:51]
	s_add_co_u32 s46, s46, s50
	s_cselect_b32 s0, -1, 0
	s_delay_alu instid0(SALU_CYCLE_1) | instskip(SKIP_1) | instid1(SALU_CYCLE_1)
	s_cmp_lg_u32 s0, 0
	s_add_co_ci_u32 s47, s47, s51
	s_mul_u64 s[48:49], s[48:49], s[46:47]
	s_delay_alu instid0(SALU_CYCLE_1)
	s_mul_hi_u32 s51, s46, s49
	s_mul_i32 s50, s46, s49
	s_mul_hi_u32 s52, s46, s48
	s_mul_i32 s15, s47, s48
	s_add_nc_u64 s[50:51], s[52:53], s[50:51]
	s_mul_hi_u32 s0, s47, s48
	s_mul_hi_u32 s45, s47, s49
	s_add_co_u32 s15, s50, s15
	s_add_co_ci_u32 s52, s51, s0
	s_mul_i32 s48, s47, s49
	s_add_co_ci_u32 s49, s45, 0
	s_delay_alu instid0(SALU_CYCLE_1) | instskip(NEXT) | instid1(SALU_CYCLE_1)
	s_add_nc_u64 s[48:49], s[52:53], s[48:49]
	s_add_co_u32 s0, s46, s48
	s_cselect_b32 s15, -1, 0
	v_mul_hi_u32 v24, v16, s0
	s_cmp_lg_u32 s15, 0
	s_add_co_ci_u32 s52, s47, s49
	s_mov_b64 s[46:47], 0xffffffff
	v_mul_u64_e32 v[20:21], s[52:53], v[16:17]
	s_and_b64 s[46:47], s[0:1], s[46:47]
	v_mul_u64_e32 v[22:23], s[52:53], v[18:19]
	v_mul_u64_e32 v[12:13], s[46:47], v[18:19]
	s_delay_alu instid0(VALU_DEP_3) | instskip(NEXT) | instid1(VALU_DEP_1)
	v_add_nc_u64_e32 v[20:21], v[24:25], v[20:21]
	v_add_co_u32 v1, vcc_lo, v20, v12
	s_delay_alu instid0(VALU_DEP_2) | instskip(SKIP_1) | instid1(VALU_DEP_1)
	v_add_co_ci_u32_e32 v10, vcc_lo, v21, v13, vcc_lo
	v_add_co_ci_u32_e32 v23, vcc_lo, 0, v23, vcc_lo
	v_add_nc_u64_e32 v[10:11], v[10:11], v[22:23]
	s_delay_alu instid0(VALU_DEP_1) | instskip(NEXT) | instid1(VALU_DEP_1)
	v_mul_u64_e32 v[12:13], s[42:43], v[10:11]
	v_sub_nc_u32_e32 v1, v18, v13
	s_delay_alu instid0(VALU_DEP_2) | instskip(NEXT) | instid1(VALU_DEP_1)
	v_sub_co_u32 v3, vcc_lo, v16, v12
	v_sub_co_ci_u32_e64 v9, null, v18, v13, vcc_lo
	s_delay_alu instid0(VALU_DEP_3) | instskip(NEXT) | instid1(VALU_DEP_3)
	v_subrev_co_ci_u32_e64 v1, null, s43, v1, vcc_lo
	v_sub_co_u32 v5, s0, v3, s42
	v_add_nc_u64_e32 v[16:17], 1, v[10:11]
	s_delay_alu instid0(VALU_DEP_3) | instskip(NEXT) | instid1(VALU_DEP_3)
	v_subrev_co_ci_u32_e64 v1, null, 0, v1, s0
	v_cmp_le_u32_e32 vcc_lo, s42, v5
	v_cndmask_b32_e64 v5, 0, -1, vcc_lo
	s_delay_alu instid0(VALU_DEP_3)
	v_cmp_le_u32_e32 vcc_lo, s43, v1
	v_cndmask_b32_e64 v12, 0, -1, vcc_lo
	v_cmp_le_u32_e32 vcc_lo, s42, v3
	v_cndmask_b32_e64 v3, 0, -1, vcc_lo
	;; [unrolled: 2-line block ×3, first 2 shown]
	v_cmp_eq_u32_e32 vcc_lo, s43, v1
	v_cndmask_b32_e32 v1, v12, v5, vcc_lo
	v_cmp_eq_u32_e32 vcc_lo, s43, v9
	v_add_nc_u64_e32 v[12:13], 2, v[10:11]
	v_cndmask_b32_e32 v3, v15, v3, vcc_lo
	s_delay_alu instid0(VALU_DEP_4) | instskip(NEXT) | instid1(VALU_DEP_2)
	v_cmp_ne_u32_e32 vcc_lo, 0, v1
	v_cmp_ne_u32_e64 s0, 0, v3
	s_delay_alu instid0(VALU_DEP_4) | instskip(NEXT) | instid1(VALU_DEP_1)
	v_dual_cndmask_b32 v1, v17, v13, vcc_lo :: v_dual_cndmask_b32 v3, v16, v12, vcc_lo
                                        ; implicit-def: $vgpr12_vgpr13
	v_dual_cndmask_b32 v1, v11, v1, s0 :: v_dual_cndmask_b32 v3, v10, v3, s0
	s_delay_alu instid0(VALU_DEP_1) | instskip(NEXT) | instid1(VALU_DEP_2)
	v_dual_mov_b32 v9, v8 :: v_dual_bitop2_b32 v11, v1, v8 bitop3:0x14
	v_xor_b32_e32 v10, v3, v8
	s_delay_alu instid0(VALU_DEP_1)
	v_sub_nc_u64_e32 v[8:9], v[10:11], v[8:9]
.LBB1_41:
	s_and_not1_saveexec_b32 s0, s44
	s_cbranch_execz .LBB1_43
; %bb.42:
	v_cvt_f32_u32_e32 v1, s12
	s_sub_co_i32 s14, 0, s12
	v_mov_b32_e32 v9, 0
	s_delay_alu instid0(VALU_DEP_2) | instskip(SKIP_1) | instid1(TRANS32_DEP_1)
	v_rcp_iflag_f32_e32 v1, v1
	v_nop
	v_mul_f32_e32 v1, 0x4f7ffffe, v1
	s_delay_alu instid0(VALU_DEP_1) | instskip(NEXT) | instid1(VALU_DEP_1)
	v_cvt_u32_f32_e32 v1, v1
	v_mul_lo_u32 v3, s14, v1
	s_delay_alu instid0(VALU_DEP_1) | instskip(NEXT) | instid1(VALU_DEP_1)
	v_mul_hi_u32 v3, v1, v3
	v_add_nc_u32_e32 v1, v1, v3
	s_delay_alu instid0(VALU_DEP_1) | instskip(NEXT) | instid1(VALU_DEP_1)
	v_mul_hi_u32 v1, v12, v1
	v_mul_lo_u32 v3, v1, s12
	s_delay_alu instid0(VALU_DEP_1) | instskip(NEXT) | instid1(VALU_DEP_1)
	v_sub_nc_u32_e32 v3, v12, v3
	v_subrev_nc_u32_e32 v8, s12, v3
	v_cmp_le_u32_e32 vcc_lo, s12, v3
	s_delay_alu instid0(VALU_DEP_2) | instskip(NEXT) | instid1(VALU_DEP_1)
	v_dual_add_nc_u32 v5, 1, v1 :: v_dual_cndmask_b32 v3, v3, v8, vcc_lo
	v_cndmask_b32_e32 v1, v1, v5, vcc_lo
	s_delay_alu instid0(VALU_DEP_2) | instskip(NEXT) | instid1(VALU_DEP_2)
	v_cmp_le_u32_e32 vcc_lo, s12, v3
	v_add_nc_u32_e32 v5, 1, v1
	s_delay_alu instid0(VALU_DEP_1)
	v_cndmask_b32_e32 v8, v1, v5, vcc_lo
.LBB1_43:
	s_or_b32 exec_lo, exec_lo, s0
.LBB1_44:
	s_delay_alu instid0(SALU_CYCLE_1) | instskip(SKIP_2) | instid1(VALU_DEP_1)
	s_or_b32 exec_lo, exec_lo, s1
	v_dual_mov_b32 v10, 0 :: v_dual_bitop2_b32 v11, s13, v7 bitop3:0x54
                                        ; implicit-def: $vgpr12_vgpr13
	s_mov_b32 s0, exec_lo
	v_cmpx_ne_u64_e32 0, v[10:11]
	s_xor_b32 s1, exec_lo, s0
	s_cbranch_execz .LBB1_46
; %bb.45:
	s_ashr_i32 s14, s13, 31
	s_mov_b32 s51, 0
	s_mov_b32 s15, s14
	v_dual_mov_b32 v19, v10 :: v_dual_ashrrev_i32 v12, 31, v7
	s_add_nc_u64 s[42:43], s[12:13], s[14:15]
	v_mov_b32_e32 v21, v10
	s_xor_b64 s[42:43], s[42:43], s[14:15]
	s_delay_alu instid0(VALU_DEP_2)
	v_mov_b32_e32 v13, v12
	s_cvt_f32_u32 s0, s42
	s_cvt_f32_u32 s15, s43
	s_sub_nc_u64 s[46:47], 0, s[42:43]
	v_mov_b32_e32 v27, v10
	v_add_nc_u64_e32 v[16:17], v[6:7], v[12:13]
	s_fmamk_f32 s0, s15, 0x4f800000, s0
	v_mov_b32_e32 v11, v10
	s_delay_alu instid0(SALU_CYCLE_2) | instskip(NEXT) | instid1(VALU_DEP_2)
	v_s_rcp_f32 s0, s0
	v_xor_b32_e32 v18, v16, v12
	s_delay_alu instid0(VALU_DEP_3) | instskip(SKIP_1) | instid1(TRANS32_DEP_1)
	v_xor_b32_e32 v20, v17, v12
	v_xor_b32_e32 v12, s14, v12
	s_mul_f32 s0, s0, 0x5f7ffffc
	s_delay_alu instid0(SALU_CYCLE_3) | instskip(NEXT) | instid1(SALU_CYCLE_3)
	s_mul_f32 s15, s0, 0x2f800000
	s_trunc_f32 s15, s15
	s_delay_alu instid0(SALU_CYCLE_3) | instskip(SKIP_1) | instid1(SALU_CYCLE_2)
	s_fmamk_f32 s0, s15, 0xcf800000, s0
	s_cvt_u32_f32 s45, s15
	s_cvt_u32_f32 s44, s0
	s_delay_alu instid0(SALU_CYCLE_3) | instskip(NEXT) | instid1(SALU_CYCLE_1)
	s_mul_u64 s[48:49], s[46:47], s[44:45]
	s_mul_hi_u32 s53, s44, s49
	s_mul_i32 s52, s44, s49
	s_mul_hi_u32 s50, s44, s48
	s_mul_i32 s15, s45, s48
	s_add_nc_u64 s[52:53], s[50:51], s[52:53]
	s_mul_hi_u32 s0, s45, s48
	s_mul_hi_u32 s54, s45, s49
	s_add_co_u32 s15, s52, s15
	s_add_co_ci_u32 s50, s53, s0
	s_mul_i32 s48, s45, s49
	s_add_co_ci_u32 s49, s54, 0
	s_delay_alu instid0(SALU_CYCLE_1) | instskip(NEXT) | instid1(SALU_CYCLE_1)
	s_add_nc_u64 s[48:49], s[50:51], s[48:49]
	s_add_co_u32 s44, s44, s48
	s_cselect_b32 s0, -1, 0
	s_delay_alu instid0(SALU_CYCLE_1) | instskip(SKIP_1) | instid1(SALU_CYCLE_1)
	s_cmp_lg_u32 s0, 0
	s_add_co_ci_u32 s45, s45, s49
	s_mul_u64 s[46:47], s[46:47], s[44:45]
	s_delay_alu instid0(SALU_CYCLE_1)
	s_mul_hi_u32 s49, s44, s47
	s_mul_i32 s48, s44, s47
	s_mul_hi_u32 s50, s44, s46
	s_mul_i32 s15, s45, s46
	s_add_nc_u64 s[48:49], s[50:51], s[48:49]
	s_mul_hi_u32 s0, s45, s46
	s_mul_hi_u32 s52, s45, s47
	s_add_co_u32 s15, s48, s15
	s_add_co_ci_u32 s50, s49, s0
	s_mul_i32 s46, s45, s47
	s_add_co_ci_u32 s47, s52, 0
	s_delay_alu instid0(SALU_CYCLE_1) | instskip(NEXT) | instid1(SALU_CYCLE_1)
	s_add_nc_u64 s[46:47], s[50:51], s[46:47]
	s_add_co_u32 s0, s44, s46
	s_cselect_b32 s15, -1, 0
	v_mul_hi_u32 v26, v18, s0
	s_cmp_lg_u32 s15, 0
	s_add_co_ci_u32 s50, s45, s47
	s_mov_b64 s[44:45], 0xffffffff
	v_mul_u64_e32 v[22:23], s[50:51], v[18:19]
	s_and_b64 s[44:45], s[0:1], s[44:45]
	v_mul_u64_e32 v[24:25], s[50:51], v[20:21]
	v_mul_u64_e32 v[16:17], s[44:45], v[20:21]
	s_delay_alu instid0(VALU_DEP_3) | instskip(NEXT) | instid1(VALU_DEP_1)
	v_add_nc_u64_e32 v[22:23], v[26:27], v[22:23]
	v_add_co_u32 v1, vcc_lo, v22, v16
	s_delay_alu instid0(VALU_DEP_2) | instskip(SKIP_1) | instid1(VALU_DEP_1)
	v_add_co_ci_u32_e32 v10, vcc_lo, v23, v17, vcc_lo
	v_add_co_ci_u32_e32 v25, vcc_lo, 0, v25, vcc_lo
	v_add_nc_u64_e32 v[10:11], v[10:11], v[24:25]
	s_delay_alu instid0(VALU_DEP_1) | instskip(NEXT) | instid1(VALU_DEP_1)
	v_mul_u64_e32 v[16:17], s[42:43], v[10:11]
	v_sub_nc_u32_e32 v1, v20, v17
	s_delay_alu instid0(VALU_DEP_2) | instskip(NEXT) | instid1(VALU_DEP_1)
	v_sub_co_u32 v3, vcc_lo, v18, v16
	v_sub_co_ci_u32_e64 v13, null, v20, v17, vcc_lo
	s_delay_alu instid0(VALU_DEP_3) | instskip(NEXT) | instid1(VALU_DEP_3)
	v_subrev_co_ci_u32_e64 v1, null, s43, v1, vcc_lo
	v_sub_co_u32 v5, s0, v3, s42
	v_add_nc_u64_e32 v[16:17], 2, v[10:11]
	s_delay_alu instid0(VALU_DEP_3) | instskip(NEXT) | instid1(VALU_DEP_3)
	v_subrev_co_ci_u32_e64 v1, null, 0, v1, s0
	v_cmp_le_u32_e32 vcc_lo, s42, v5
	v_add_nc_u64_e32 v[18:19], 1, v[10:11]
	v_cndmask_b32_e64 v5, 0, -1, vcc_lo
	s_delay_alu instid0(VALU_DEP_4)
	v_cmp_le_u32_e32 vcc_lo, s43, v1
	v_cndmask_b32_e64 v15, 0, -1, vcc_lo
	v_cmp_le_u32_e32 vcc_lo, s42, v3
	v_cndmask_b32_e64 v3, 0, -1, vcc_lo
	v_cmp_le_u32_e32 vcc_lo, s43, v13
	v_cndmask_b32_e64 v20, 0, -1, vcc_lo
	v_cmp_eq_u32_e32 vcc_lo, s43, v1
	v_cndmask_b32_e32 v1, v15, v5, vcc_lo
	v_cmp_eq_u32_e32 vcc_lo, s43, v13
	s_delay_alu instid0(VALU_DEP_4) | instskip(NEXT) | instid1(VALU_DEP_3)
	v_cndmask_b32_e32 v3, v20, v3, vcc_lo
	v_cmp_ne_u32_e32 vcc_lo, 0, v1
	s_delay_alu instid0(VALU_DEP_2) | instskip(SKIP_1) | instid1(VALU_DEP_1)
	v_cmp_ne_u32_e64 s0, 0, v3
	v_dual_cndmask_b32 v1, v19, v17, vcc_lo :: v_dual_cndmask_b32 v3, v18, v16, vcc_lo
	v_dual_cndmask_b32 v1, v11, v1, s0 :: v_dual_cndmask_b32 v3, v10, v3, s0
	s_delay_alu instid0(VALU_DEP_1) | instskip(NEXT) | instid1(VALU_DEP_2)
	v_dual_mov_b32 v13, v12 :: v_dual_bitop2_b32 v11, v1, v12 bitop3:0x14
	v_xor_b32_e32 v10, v3, v12
	s_delay_alu instid0(VALU_DEP_1)
	v_sub_nc_u64_e32 v[12:13], v[10:11], v[12:13]
.LBB1_46:
	s_and_not1_saveexec_b32 s0, s1
	s_cbranch_execz .LBB1_48
; %bb.47:
	v_cvt_f32_u32_e32 v1, s12
	s_sub_co_i32 s1, 0, s12
	v_mov_b32_e32 v13, 0
	s_delay_alu instid0(VALU_DEP_2) | instskip(SKIP_1) | instid1(TRANS32_DEP_1)
	v_rcp_iflag_f32_e32 v1, v1
	v_nop
	v_mul_f32_e32 v1, 0x4f7ffffe, v1
	s_delay_alu instid0(VALU_DEP_1) | instskip(NEXT) | instid1(VALU_DEP_1)
	v_cvt_u32_f32_e32 v1, v1
	v_mul_lo_u32 v3, s1, v1
	s_delay_alu instid0(VALU_DEP_1) | instskip(NEXT) | instid1(VALU_DEP_1)
	v_mul_hi_u32 v3, v1, v3
	v_add_nc_u32_e32 v1, v1, v3
	s_delay_alu instid0(VALU_DEP_1) | instskip(NEXT) | instid1(VALU_DEP_1)
	v_mul_hi_u32 v1, v6, v1
	v_mul_lo_u32 v3, v1, s12
	s_delay_alu instid0(VALU_DEP_1) | instskip(NEXT) | instid1(VALU_DEP_1)
	v_sub_nc_u32_e32 v3, v6, v3
	v_subrev_nc_u32_e32 v10, s12, v3
	v_cmp_le_u32_e32 vcc_lo, s12, v3
	s_delay_alu instid0(VALU_DEP_2) | instskip(NEXT) | instid1(VALU_DEP_1)
	v_dual_add_nc_u32 v5, 1, v1 :: v_dual_cndmask_b32 v3, v3, v10, vcc_lo
	v_cndmask_b32_e32 v1, v1, v5, vcc_lo
	s_delay_alu instid0(VALU_DEP_2) | instskip(NEXT) | instid1(VALU_DEP_2)
	v_cmp_le_u32_e32 vcc_lo, s12, v3
	v_add_nc_u32_e32 v5, 1, v1
	s_delay_alu instid0(VALU_DEP_1)
	v_cndmask_b32_e32 v12, v1, v5, vcc_lo
.LBB1_48:
	s_or_b32 exec_lo, exec_lo, s0
	v_mul_u64_e32 v[16:17], s[12:13], v[8:9]
	s_delay_alu instid0(VALU_DEP_2) | instskip(SKIP_2) | instid1(VALU_DEP_2)
	v_min_i64 v[10:11], v[12:13], s[2:3]
	s_mov_b32 s14, 0
	s_mov_b32 s15, exec_lo
	v_add_nc_u64_e32 v[12:13], s[10:11], v[16:17]
	v_cmp_gt_i64_e32 vcc_lo, v[16:17], v[6:7]
	s_delay_alu instid0(VALU_DEP_2) | instskip(SKIP_2) | instid1(SALU_CYCLE_1)
	v_cmp_ge_i64_e64 s0, v[6:7], v[12:13]
	v_mov_b32_e32 v13, s14
	s_or_b32 s0, vcc_lo, s0
	v_cndmask_b32_e64 v12, 0, 1, s0
	s_delay_alu instid0(VALU_DEP_1) | instskip(NEXT) | instid1(VALU_DEP_1)
	v_add_nc_u64_e32 v[8:9], v[8:9], v[12:13]
	v_cmpx_le_i64_e64 v[8:9], v[10:11]
	s_cbranch_execz .LBB1_51
; %bb.49:
	global_load_u8 v1, v2, s[4:5]
	v_mul_u64_e32 v[12:13], s[12:13], v[8:9]
	v_mul_u64_e32 v[16:17], s[16:17], v[8:9]
	s_mul_u64 s[0:1], s[12:13], s[18:19]
	s_delay_alu instid0(SALU_CYCLE_1) | instskip(NEXT) | instid1(VALU_DEP_2)
	s_sub_nc_u64 s[0:1], s[16:17], s[0:1]
	v_sub_nc_u64_e32 v[6:7], v[6:7], v[12:13]
	s_delay_alu instid0(VALU_DEP_1) | instskip(NEXT) | instid1(VALU_DEP_1)
	v_mad_nc_u64_u32 v[12:13], s18, v6, v[16:17]
	v_mad_u32 v3, s19, v6, v13
	s_delay_alu instid0(VALU_DEP_1) | instskip(SKIP_1) | instid1(VALU_DEP_1)
	v_mad_u32 v13, s18, v7, v3
	v_mov_b32_e32 v3, 0
	v_mov_b32_e32 v5, v3
	s_wait_xcnt 0x0
	v_add_nc_u64_e32 v[2:3], s[4:5], v[2:3]
	s_delay_alu instid0(VALU_DEP_2) | instskip(SKIP_1) | instid1(VALU_DEP_2)
	v_add_nc_u64_e32 v[6:7], v[12:13], v[4:5]
	v_add_nc_u64_e32 v[4:5], -1, v[8:9]
	v_add_nc_u64_e32 v[6:7], s[6:7], v[6:7]
.LBB1_50:                               ; =>This Inner Loop Header: Depth=1
	global_load_u8 v8, v[6:7], off
	v_add_nc_u64_e32 v[4:5], 1, v[4:5]
	s_wait_xcnt 0x0
	v_add_nc_u64_e32 v[6:7], s[0:1], v[6:7]
	s_delay_alu instid0(VALU_DEP_2)
	v_cmp_ge_i64_e32 vcc_lo, v[4:5], v[10:11]
	s_or_b32 s14, vcc_lo, s14
	s_wait_loadcnt 0x0
	v_add_nc_u16 v1, v8, v1
	global_store_b8 v[2:3], v1, off
	s_wait_xcnt 0x0
	s_and_not1_b32 exec_lo, exec_lo, s14
	s_cbranch_execnz .LBB1_50
.LBB1_51:
	s_or_b32 exec_lo, exec_lo, s15
	v_add_nc_u32_e32 v0, 0x100, v0
	s_or_b32 exec_lo, exec_lo, s29
	s_delay_alu instid0(SALU_CYCLE_1) | instskip(NEXT) | instid1(VALU_DEP_1)
	s_mov_b32 s29, exec_lo
	v_cmpx_gt_i32_e64 s31, v0
	s_cbranch_execz .LBB1_3
.LBB1_52:
	v_cmp_ne_u32_e32 vcc_lo, 1, v14
	s_cbranch_vccnz .LBB1_59
; %bb.53:
	v_dual_mov_b32 v3, 0 :: v_dual_mov_b32 v4, 0
	v_mov_b32_e32 v2, 0
	s_and_not1_b32 vcc_lo, exec_lo, s33
	s_cbranch_vccnz .LBB1_58
; %bb.54:
	v_dual_mov_b32 v2, 0 :: v_dual_mov_b32 v1, v0
	v_dual_mov_b32 v4, 0 :: v_dual_mov_b32 v3, 0
	s_add_co_i32 s14, s22, 1
	s_mov_b64 s[0:1], 0xffffffffffffffe8
	s_and_b32 s14, s14, 30
	s_add_nc_u64 s[0:1], s[40:41], s[0:1]
.LBB1_55:                               ; =>This Inner Loop Header: Depth=1
	s_clause 0x1
	s_load_b128 s[44:47], s[0:1], 0x1c
	s_load_b64 s[42:43], s[0:1], 0x2c
	s_add_co_i32 s14, s14, -2
	s_delay_alu instid0(SALU_CYCLE_1) | instskip(SKIP_2) | instid1(VALU_DEP_1)
	s_cmp_eq_u32 s14, 0
	s_wait_kmcnt 0x0
	v_mul_hi_u32 v5, s45, v1
	v_add_nc_u32_e32 v5, v1, v5
	s_delay_alu instid0(VALU_DEP_1) | instskip(NEXT) | instid1(VALU_DEP_1)
	v_lshrrev_b32_e32 v5, s46, v5
	v_mul_hi_u32 v6, s42, v5
	v_mul_lo_u32 v7, v5, s44
	s_clause 0x1
	s_load_b128 s[48:51], s[0:1], 0xdc
	s_load_b64 s[44:45], s[0:1], 0xec
	s_wait_xcnt 0x0
	s_add_nc_u64 s[0:1], s[0:1], 24
	s_delay_alu instid0(VALU_DEP_2) | instskip(NEXT) | instid1(VALU_DEP_1)
	v_add_nc_u32_e32 v6, v5, v6
	v_dual_sub_nc_u32 v7, v1, v7 :: v_dual_lshrrev_b32 v1, s43, v6
	s_wait_kmcnt 0x0
	s_delay_alu instid0(VALU_DEP_1) | instskip(NEXT) | instid1(VALU_DEP_2)
	v_mad_u32 v2, v7, s48, v2
	v_mul_lo_u32 v6, v1, s47
	v_mad_u32 v3, v7, s50, v3
	v_mad_u32 v4, v7, s49, v4
	s_delay_alu instid0(VALU_DEP_3) | instskip(NEXT) | instid1(VALU_DEP_1)
	v_sub_nc_u32_e32 v5, v5, v6
	v_mad_u32 v2, v5, s51, v2
	s_delay_alu instid0(VALU_DEP_4) | instskip(NEXT) | instid1(VALU_DEP_4)
	v_mad_u32 v3, v5, s45, v3
	v_mad_u32 v4, v5, s44, v4
	s_cbranch_scc0 .LBB1_55
; %bb.56:
	s_bitcmp1_b32 s22, 0
	s_cselect_b32 s14, -1, 0
	s_delay_alu instid0(SALU_CYCLE_1)
	s_and_b32 vcc_lo, exec_lo, s14
	s_cbranch_vccnz .LBB1_58
; %bb.57:
	s_clause 0x1
	s_load_b96 s[44:46], s[0:1], 0x1c
	s_load_b96 s[48:50], s[0:1], 0xdc
	s_wait_kmcnt 0x0
	v_mul_hi_u32 v5, s45, v1
	s_delay_alu instid0(VALU_DEP_1) | instskip(NEXT) | instid1(VALU_DEP_1)
	v_add_nc_u32_e32 v5, v1, v5
	v_lshrrev_b32_e32 v5, s46, v5
	s_delay_alu instid0(VALU_DEP_1) | instskip(NEXT) | instid1(VALU_DEP_1)
	v_mul_lo_u32 v5, v5, s44
	v_sub_nc_u32_e32 v1, v1, v5
	s_delay_alu instid0(VALU_DEP_1)
	v_mad_u32 v2, v1, s48, v2
	v_mad_u32 v4, v1, s49, v4
	;; [unrolled: 1-line block ×3, first 2 shown]
.LBB1_58:
	s_cbranch_execz .LBB1_60
	s_branch .LBB1_62
.LBB1_59:
                                        ; implicit-def: $vgpr3
                                        ; implicit-def: $vgpr4
                                        ; implicit-def: $vgpr2
.LBB1_60:
	v_mov_b32_e32 v1, 0
	s_and_not1_b32 vcc_lo, exec_lo, s20
	s_delay_alu instid0(VALU_DEP_1) | instskip(NEXT) | instid1(VALU_DEP_1)
	v_mul_u64_e32 v[2:3], s[36:37], v[0:1]
	v_add_nc_u32_e32 v2, v0, v3
	s_delay_alu instid0(VALU_DEP_1) | instskip(NEXT) | instid1(VALU_DEP_1)
	v_lshrrev_b32_e32 v6, s23, v2
	v_mul_lo_u32 v2, v6, s21
	s_delay_alu instid0(VALU_DEP_1) | instskip(NEXT) | instid1(VALU_DEP_1)
	v_sub_nc_u32_e32 v4, v0, v2
	v_mul_lo_u32 v2, v4, s24
	v_mul_lo_u32 v3, v4, s26
	;; [unrolled: 1-line block ×3, first 2 shown]
	s_cbranch_vccnz .LBB1_62
; %bb.61:
	v_mov_b32_e32 v7, v1
	s_delay_alu instid0(VALU_DEP_1) | instskip(NEXT) | instid1(VALU_DEP_1)
	v_mul_u64_e32 v[8:9], s[38:39], v[6:7]
	v_add_nc_u32_e32 v1, v6, v9
	s_delay_alu instid0(VALU_DEP_1) | instskip(NEXT) | instid1(VALU_DEP_1)
	v_lshrrev_b32_e32 v1, s30, v1
	v_mul_lo_u32 v1, v1, s28
	s_delay_alu instid0(VALU_DEP_1) | instskip(NEXT) | instid1(VALU_DEP_1)
	v_sub_nc_u32_e32 v1, v6, v1
	v_mad_u32 v2, v1, s27, v2
	v_mad_u32 v4, v1, s34, v4
	;; [unrolled: 1-line block ×3, first 2 shown]
.LBB1_62:
	global_load_b64 v[6:7], v3, s[8:9]
	v_mov_b64_e32 v[8:9], 0
	s_mov_b32 s1, exec_lo
	s_wait_loadcnt 0x0
	v_cmpx_lt_i64_e64 s[10:11], v[6:7]
	s_cbranch_execz .LBB1_68
; %bb.63:
	v_sub_nc_u64_e64 v[12:13], v[6:7], s[10:11]
                                        ; implicit-def: $vgpr8_vgpr9
	s_mov_b32 s0, exec_lo
	s_delay_alu instid0(VALU_DEP_1) | instskip(NEXT) | instid1(VALU_DEP_1)
	v_dual_mov_b32 v10, 0 :: v_dual_bitop2_b32 v11, s13, v13 bitop3:0x54
	v_cmpx_ne_u64_e32 0, v[10:11]
	s_xor_b32 s44, exec_lo, s0
	s_cbranch_execz .LBB1_65
; %bb.64:
	s_ashr_i32 s14, s13, 31
	s_mov_b32 s53, 0
	s_mov_b32 s15, s14
	v_dual_mov_b32 v17, v10 :: v_dual_ashrrev_i32 v8, 31, v13
	s_add_nc_u64 s[42:43], s[12:13], s[14:15]
	v_mov_b32_e32 v19, v10
	s_xor_b64 s[42:43], s[42:43], s[14:15]
	s_delay_alu instid0(VALU_DEP_2)
	v_mov_b32_e32 v9, v8
	s_cvt_f32_u32 s0, s42
	s_cvt_f32_u32 s15, s43
	s_sub_nc_u64 s[48:49], 0, s[42:43]
	v_mov_b32_e32 v25, v10
	v_add_nc_u64_e32 v[12:13], v[12:13], v[8:9]
	s_fmamk_f32 s0, s15, 0x4f800000, s0
	v_mov_b32_e32 v11, v10
	s_delay_alu instid0(SALU_CYCLE_2) | instskip(NEXT) | instid1(VALU_DEP_2)
	v_s_rcp_f32 s0, s0
	v_xor_b32_e32 v16, v12, v8
	s_delay_alu instid0(VALU_DEP_3) | instskip(SKIP_1) | instid1(TRANS32_DEP_1)
	v_xor_b32_e32 v18, v13, v8
	v_xor_b32_e32 v8, s14, v8
	s_mul_f32 s0, s0, 0x5f7ffffc
	s_delay_alu instid0(SALU_CYCLE_3) | instskip(NEXT) | instid1(SALU_CYCLE_3)
	s_mul_f32 s15, s0, 0x2f800000
	s_trunc_f32 s15, s15
	s_delay_alu instid0(SALU_CYCLE_3) | instskip(SKIP_1) | instid1(SALU_CYCLE_2)
	s_fmamk_f32 s0, s15, 0xcf800000, s0
	s_cvt_u32_f32 s47, s15
	s_cvt_u32_f32 s46, s0
	s_delay_alu instid0(SALU_CYCLE_3) | instskip(NEXT) | instid1(SALU_CYCLE_1)
	s_mul_u64 s[50:51], s[48:49], s[46:47]
	s_mul_hi_u32 s55, s46, s51
	s_mul_i32 s54, s46, s51
	s_mul_hi_u32 s52, s46, s50
	s_mul_i32 s15, s47, s50
	s_add_nc_u64 s[54:55], s[52:53], s[54:55]
	s_mul_hi_u32 s0, s47, s50
	s_mul_hi_u32 s45, s47, s51
	s_add_co_u32 s15, s54, s15
	s_add_co_ci_u32 s52, s55, s0
	s_mul_i32 s50, s47, s51
	s_add_co_ci_u32 s51, s45, 0
	s_delay_alu instid0(SALU_CYCLE_1) | instskip(NEXT) | instid1(SALU_CYCLE_1)
	s_add_nc_u64 s[50:51], s[52:53], s[50:51]
	s_add_co_u32 s46, s46, s50
	s_cselect_b32 s0, -1, 0
	s_delay_alu instid0(SALU_CYCLE_1) | instskip(SKIP_1) | instid1(SALU_CYCLE_1)
	s_cmp_lg_u32 s0, 0
	s_add_co_ci_u32 s47, s47, s51
	s_mul_u64 s[48:49], s[48:49], s[46:47]
	s_delay_alu instid0(SALU_CYCLE_1)
	s_mul_hi_u32 s51, s46, s49
	s_mul_i32 s50, s46, s49
	s_mul_hi_u32 s52, s46, s48
	s_mul_i32 s15, s47, s48
	s_add_nc_u64 s[50:51], s[52:53], s[50:51]
	s_mul_hi_u32 s0, s47, s48
	s_mul_hi_u32 s45, s47, s49
	s_add_co_u32 s15, s50, s15
	s_add_co_ci_u32 s52, s51, s0
	s_mul_i32 s48, s47, s49
	s_add_co_ci_u32 s49, s45, 0
	s_delay_alu instid0(SALU_CYCLE_1) | instskip(NEXT) | instid1(SALU_CYCLE_1)
	s_add_nc_u64 s[48:49], s[52:53], s[48:49]
	s_add_co_u32 s0, s46, s48
	s_cselect_b32 s15, -1, 0
	v_mul_hi_u32 v24, v16, s0
	s_cmp_lg_u32 s15, 0
	s_add_co_ci_u32 s52, s47, s49
	s_mov_b64 s[46:47], 0xffffffff
	v_mul_u64_e32 v[20:21], s[52:53], v[16:17]
	s_and_b64 s[46:47], s[0:1], s[46:47]
	v_mul_u64_e32 v[22:23], s[52:53], v[18:19]
	v_mul_u64_e32 v[12:13], s[46:47], v[18:19]
	s_delay_alu instid0(VALU_DEP_3) | instskip(NEXT) | instid1(VALU_DEP_1)
	v_add_nc_u64_e32 v[20:21], v[24:25], v[20:21]
	v_add_co_u32 v1, vcc_lo, v20, v12
	s_delay_alu instid0(VALU_DEP_2) | instskip(SKIP_1) | instid1(VALU_DEP_1)
	v_add_co_ci_u32_e32 v10, vcc_lo, v21, v13, vcc_lo
	v_add_co_ci_u32_e32 v23, vcc_lo, 0, v23, vcc_lo
	v_add_nc_u64_e32 v[10:11], v[10:11], v[22:23]
	s_delay_alu instid0(VALU_DEP_1) | instskip(NEXT) | instid1(VALU_DEP_1)
	v_mul_u64_e32 v[12:13], s[42:43], v[10:11]
	v_sub_nc_u32_e32 v1, v18, v13
	s_delay_alu instid0(VALU_DEP_2) | instskip(NEXT) | instid1(VALU_DEP_1)
	v_sub_co_u32 v3, vcc_lo, v16, v12
	v_sub_co_ci_u32_e64 v9, null, v18, v13, vcc_lo
	s_delay_alu instid0(VALU_DEP_3) | instskip(NEXT) | instid1(VALU_DEP_3)
	v_subrev_co_ci_u32_e64 v1, null, s43, v1, vcc_lo
	v_sub_co_u32 v5, s0, v3, s42
	v_add_nc_u64_e32 v[16:17], 1, v[10:11]
	s_delay_alu instid0(VALU_DEP_3) | instskip(NEXT) | instid1(VALU_DEP_3)
	v_subrev_co_ci_u32_e64 v1, null, 0, v1, s0
	v_cmp_le_u32_e32 vcc_lo, s42, v5
	v_cndmask_b32_e64 v5, 0, -1, vcc_lo
	s_delay_alu instid0(VALU_DEP_3)
	v_cmp_le_u32_e32 vcc_lo, s43, v1
	v_cndmask_b32_e64 v12, 0, -1, vcc_lo
	v_cmp_le_u32_e32 vcc_lo, s42, v3
	v_cndmask_b32_e64 v3, 0, -1, vcc_lo
	v_cmp_le_u32_e32 vcc_lo, s43, v9
	v_cndmask_b32_e64 v15, 0, -1, vcc_lo
	v_cmp_eq_u32_e32 vcc_lo, s43, v1
	v_cndmask_b32_e32 v1, v12, v5, vcc_lo
	v_cmp_eq_u32_e32 vcc_lo, s43, v9
	v_add_nc_u64_e32 v[12:13], 2, v[10:11]
	v_cndmask_b32_e32 v3, v15, v3, vcc_lo
	s_delay_alu instid0(VALU_DEP_4) | instskip(NEXT) | instid1(VALU_DEP_2)
	v_cmp_ne_u32_e32 vcc_lo, 0, v1
	v_cmp_ne_u32_e64 s0, 0, v3
	s_delay_alu instid0(VALU_DEP_4) | instskip(NEXT) | instid1(VALU_DEP_1)
	v_dual_cndmask_b32 v1, v17, v13, vcc_lo :: v_dual_cndmask_b32 v3, v16, v12, vcc_lo
                                        ; implicit-def: $vgpr12_vgpr13
	v_dual_cndmask_b32 v1, v11, v1, s0 :: v_dual_cndmask_b32 v3, v10, v3, s0
	s_delay_alu instid0(VALU_DEP_1) | instskip(NEXT) | instid1(VALU_DEP_2)
	v_dual_mov_b32 v9, v8 :: v_dual_bitop2_b32 v11, v1, v8 bitop3:0x14
	v_xor_b32_e32 v10, v3, v8
	s_delay_alu instid0(VALU_DEP_1)
	v_sub_nc_u64_e32 v[8:9], v[10:11], v[8:9]
.LBB1_65:
	s_and_not1_saveexec_b32 s0, s44
	s_cbranch_execz .LBB1_67
; %bb.66:
	v_cvt_f32_u32_e32 v1, s12
	s_sub_co_i32 s14, 0, s12
	v_mov_b32_e32 v9, 0
	s_delay_alu instid0(VALU_DEP_2) | instskip(SKIP_1) | instid1(TRANS32_DEP_1)
	v_rcp_iflag_f32_e32 v1, v1
	v_nop
	v_mul_f32_e32 v1, 0x4f7ffffe, v1
	s_delay_alu instid0(VALU_DEP_1) | instskip(NEXT) | instid1(VALU_DEP_1)
	v_cvt_u32_f32_e32 v1, v1
	v_mul_lo_u32 v3, s14, v1
	s_delay_alu instid0(VALU_DEP_1) | instskip(NEXT) | instid1(VALU_DEP_1)
	v_mul_hi_u32 v3, v1, v3
	v_add_nc_u32_e32 v1, v1, v3
	s_delay_alu instid0(VALU_DEP_1) | instskip(NEXT) | instid1(VALU_DEP_1)
	v_mul_hi_u32 v1, v12, v1
	v_mul_lo_u32 v3, v1, s12
	s_delay_alu instid0(VALU_DEP_1) | instskip(NEXT) | instid1(VALU_DEP_1)
	v_sub_nc_u32_e32 v3, v12, v3
	v_subrev_nc_u32_e32 v8, s12, v3
	v_cmp_le_u32_e32 vcc_lo, s12, v3
	s_delay_alu instid0(VALU_DEP_2) | instskip(NEXT) | instid1(VALU_DEP_1)
	v_dual_add_nc_u32 v5, 1, v1 :: v_dual_cndmask_b32 v3, v3, v8, vcc_lo
	v_cndmask_b32_e32 v1, v1, v5, vcc_lo
	s_delay_alu instid0(VALU_DEP_2) | instskip(NEXT) | instid1(VALU_DEP_2)
	v_cmp_le_u32_e32 vcc_lo, s12, v3
	v_add_nc_u32_e32 v5, 1, v1
	s_delay_alu instid0(VALU_DEP_1)
	v_cndmask_b32_e32 v8, v1, v5, vcc_lo
.LBB1_67:
	s_or_b32 exec_lo, exec_lo, s0
.LBB1_68:
	s_delay_alu instid0(SALU_CYCLE_1) | instskip(SKIP_2) | instid1(VALU_DEP_1)
	s_or_b32 exec_lo, exec_lo, s1
	v_dual_mov_b32 v10, 0 :: v_dual_bitop2_b32 v11, s13, v7 bitop3:0x54
                                        ; implicit-def: $vgpr12_vgpr13
	s_mov_b32 s0, exec_lo
	v_cmpx_ne_u64_e32 0, v[10:11]
	s_xor_b32 s1, exec_lo, s0
	s_cbranch_execz .LBB1_70
; %bb.69:
	s_ashr_i32 s14, s13, 31
	s_mov_b32 s51, 0
	s_mov_b32 s15, s14
	v_dual_mov_b32 v19, v10 :: v_dual_ashrrev_i32 v12, 31, v7
	s_add_nc_u64 s[42:43], s[12:13], s[14:15]
	v_mov_b32_e32 v21, v10
	s_xor_b64 s[42:43], s[42:43], s[14:15]
	s_delay_alu instid0(VALU_DEP_2)
	v_mov_b32_e32 v13, v12
	s_cvt_f32_u32 s0, s42
	s_cvt_f32_u32 s15, s43
	s_sub_nc_u64 s[46:47], 0, s[42:43]
	v_mov_b32_e32 v27, v10
	v_add_nc_u64_e32 v[16:17], v[6:7], v[12:13]
	s_fmamk_f32 s0, s15, 0x4f800000, s0
	v_mov_b32_e32 v11, v10
	s_delay_alu instid0(SALU_CYCLE_2) | instskip(NEXT) | instid1(VALU_DEP_2)
	v_s_rcp_f32 s0, s0
	v_xor_b32_e32 v18, v16, v12
	s_delay_alu instid0(VALU_DEP_3) | instskip(SKIP_1) | instid1(TRANS32_DEP_1)
	v_xor_b32_e32 v20, v17, v12
	v_xor_b32_e32 v12, s14, v12
	s_mul_f32 s0, s0, 0x5f7ffffc
	s_delay_alu instid0(SALU_CYCLE_3) | instskip(NEXT) | instid1(SALU_CYCLE_3)
	s_mul_f32 s15, s0, 0x2f800000
	s_trunc_f32 s15, s15
	s_delay_alu instid0(SALU_CYCLE_3) | instskip(SKIP_1) | instid1(SALU_CYCLE_2)
	s_fmamk_f32 s0, s15, 0xcf800000, s0
	s_cvt_u32_f32 s45, s15
	s_cvt_u32_f32 s44, s0
	s_delay_alu instid0(SALU_CYCLE_3) | instskip(NEXT) | instid1(SALU_CYCLE_1)
	s_mul_u64 s[48:49], s[46:47], s[44:45]
	s_mul_hi_u32 s53, s44, s49
	s_mul_i32 s52, s44, s49
	s_mul_hi_u32 s50, s44, s48
	s_mul_i32 s15, s45, s48
	s_add_nc_u64 s[52:53], s[50:51], s[52:53]
	s_mul_hi_u32 s0, s45, s48
	s_mul_hi_u32 s54, s45, s49
	s_add_co_u32 s15, s52, s15
	s_add_co_ci_u32 s50, s53, s0
	s_mul_i32 s48, s45, s49
	s_add_co_ci_u32 s49, s54, 0
	s_delay_alu instid0(SALU_CYCLE_1) | instskip(NEXT) | instid1(SALU_CYCLE_1)
	s_add_nc_u64 s[48:49], s[50:51], s[48:49]
	s_add_co_u32 s44, s44, s48
	s_cselect_b32 s0, -1, 0
	s_delay_alu instid0(SALU_CYCLE_1) | instskip(SKIP_1) | instid1(SALU_CYCLE_1)
	s_cmp_lg_u32 s0, 0
	s_add_co_ci_u32 s45, s45, s49
	s_mul_u64 s[46:47], s[46:47], s[44:45]
	s_delay_alu instid0(SALU_CYCLE_1)
	s_mul_hi_u32 s49, s44, s47
	s_mul_i32 s48, s44, s47
	s_mul_hi_u32 s50, s44, s46
	s_mul_i32 s15, s45, s46
	s_add_nc_u64 s[48:49], s[50:51], s[48:49]
	s_mul_hi_u32 s0, s45, s46
	s_mul_hi_u32 s52, s45, s47
	s_add_co_u32 s15, s48, s15
	s_add_co_ci_u32 s50, s49, s0
	s_mul_i32 s46, s45, s47
	s_add_co_ci_u32 s47, s52, 0
	s_delay_alu instid0(SALU_CYCLE_1) | instskip(NEXT) | instid1(SALU_CYCLE_1)
	s_add_nc_u64 s[46:47], s[50:51], s[46:47]
	s_add_co_u32 s0, s44, s46
	s_cselect_b32 s15, -1, 0
	v_mul_hi_u32 v26, v18, s0
	s_cmp_lg_u32 s15, 0
	s_add_co_ci_u32 s50, s45, s47
	s_mov_b64 s[44:45], 0xffffffff
	v_mul_u64_e32 v[22:23], s[50:51], v[18:19]
	s_and_b64 s[44:45], s[0:1], s[44:45]
	v_mul_u64_e32 v[24:25], s[50:51], v[20:21]
	v_mul_u64_e32 v[16:17], s[44:45], v[20:21]
	s_delay_alu instid0(VALU_DEP_3) | instskip(NEXT) | instid1(VALU_DEP_1)
	v_add_nc_u64_e32 v[22:23], v[26:27], v[22:23]
	v_add_co_u32 v1, vcc_lo, v22, v16
	s_delay_alu instid0(VALU_DEP_2) | instskip(SKIP_1) | instid1(VALU_DEP_1)
	v_add_co_ci_u32_e32 v10, vcc_lo, v23, v17, vcc_lo
	v_add_co_ci_u32_e32 v25, vcc_lo, 0, v25, vcc_lo
	v_add_nc_u64_e32 v[10:11], v[10:11], v[24:25]
	s_delay_alu instid0(VALU_DEP_1) | instskip(NEXT) | instid1(VALU_DEP_1)
	v_mul_u64_e32 v[16:17], s[42:43], v[10:11]
	v_sub_nc_u32_e32 v1, v20, v17
	s_delay_alu instid0(VALU_DEP_2) | instskip(NEXT) | instid1(VALU_DEP_1)
	v_sub_co_u32 v3, vcc_lo, v18, v16
	v_sub_co_ci_u32_e64 v13, null, v20, v17, vcc_lo
	s_delay_alu instid0(VALU_DEP_3) | instskip(NEXT) | instid1(VALU_DEP_3)
	v_subrev_co_ci_u32_e64 v1, null, s43, v1, vcc_lo
	v_sub_co_u32 v5, s0, v3, s42
	v_add_nc_u64_e32 v[16:17], 2, v[10:11]
	s_delay_alu instid0(VALU_DEP_3) | instskip(NEXT) | instid1(VALU_DEP_3)
	v_subrev_co_ci_u32_e64 v1, null, 0, v1, s0
	v_cmp_le_u32_e32 vcc_lo, s42, v5
	v_add_nc_u64_e32 v[18:19], 1, v[10:11]
	v_cndmask_b32_e64 v5, 0, -1, vcc_lo
	s_delay_alu instid0(VALU_DEP_4)
	v_cmp_le_u32_e32 vcc_lo, s43, v1
	v_cndmask_b32_e64 v15, 0, -1, vcc_lo
	v_cmp_le_u32_e32 vcc_lo, s42, v3
	v_cndmask_b32_e64 v3, 0, -1, vcc_lo
	;; [unrolled: 2-line block ×3, first 2 shown]
	v_cmp_eq_u32_e32 vcc_lo, s43, v1
	v_cndmask_b32_e32 v1, v15, v5, vcc_lo
	v_cmp_eq_u32_e32 vcc_lo, s43, v13
	s_delay_alu instid0(VALU_DEP_4) | instskip(NEXT) | instid1(VALU_DEP_3)
	v_cndmask_b32_e32 v3, v20, v3, vcc_lo
	v_cmp_ne_u32_e32 vcc_lo, 0, v1
	s_delay_alu instid0(VALU_DEP_2) | instskip(SKIP_1) | instid1(VALU_DEP_1)
	v_cmp_ne_u32_e64 s0, 0, v3
	v_dual_cndmask_b32 v1, v19, v17, vcc_lo :: v_dual_cndmask_b32 v3, v18, v16, vcc_lo
	v_dual_cndmask_b32 v1, v11, v1, s0 :: v_dual_cndmask_b32 v3, v10, v3, s0
	s_delay_alu instid0(VALU_DEP_1) | instskip(NEXT) | instid1(VALU_DEP_2)
	v_dual_mov_b32 v13, v12 :: v_dual_bitop2_b32 v11, v1, v12 bitop3:0x14
	v_xor_b32_e32 v10, v3, v12
	s_delay_alu instid0(VALU_DEP_1)
	v_sub_nc_u64_e32 v[12:13], v[10:11], v[12:13]
.LBB1_70:
	s_and_not1_saveexec_b32 s0, s1
	s_cbranch_execz .LBB1_72
; %bb.71:
	v_cvt_f32_u32_e32 v1, s12
	s_sub_co_i32 s1, 0, s12
	v_mov_b32_e32 v13, 0
	s_delay_alu instid0(VALU_DEP_2) | instskip(SKIP_1) | instid1(TRANS32_DEP_1)
	v_rcp_iflag_f32_e32 v1, v1
	v_nop
	v_mul_f32_e32 v1, 0x4f7ffffe, v1
	s_delay_alu instid0(VALU_DEP_1) | instskip(NEXT) | instid1(VALU_DEP_1)
	v_cvt_u32_f32_e32 v1, v1
	v_mul_lo_u32 v3, s1, v1
	s_delay_alu instid0(VALU_DEP_1) | instskip(NEXT) | instid1(VALU_DEP_1)
	v_mul_hi_u32 v3, v1, v3
	v_add_nc_u32_e32 v1, v1, v3
	s_delay_alu instid0(VALU_DEP_1) | instskip(NEXT) | instid1(VALU_DEP_1)
	v_mul_hi_u32 v1, v6, v1
	v_mul_lo_u32 v3, v1, s12
	s_delay_alu instid0(VALU_DEP_1) | instskip(NEXT) | instid1(VALU_DEP_1)
	v_sub_nc_u32_e32 v3, v6, v3
	v_subrev_nc_u32_e32 v10, s12, v3
	v_cmp_le_u32_e32 vcc_lo, s12, v3
	s_delay_alu instid0(VALU_DEP_2) | instskip(NEXT) | instid1(VALU_DEP_1)
	v_dual_add_nc_u32 v5, 1, v1 :: v_dual_cndmask_b32 v3, v3, v10, vcc_lo
	v_cndmask_b32_e32 v1, v1, v5, vcc_lo
	s_delay_alu instid0(VALU_DEP_2) | instskip(NEXT) | instid1(VALU_DEP_2)
	v_cmp_le_u32_e32 vcc_lo, s12, v3
	v_add_nc_u32_e32 v5, 1, v1
	s_delay_alu instid0(VALU_DEP_1)
	v_cndmask_b32_e32 v12, v1, v5, vcc_lo
.LBB1_72:
	s_or_b32 exec_lo, exec_lo, s0
	v_mul_u64_e32 v[16:17], s[12:13], v[8:9]
	s_delay_alu instid0(VALU_DEP_2) | instskip(SKIP_2) | instid1(VALU_DEP_2)
	v_min_i64 v[10:11], v[12:13], s[2:3]
	s_mov_b32 s14, 0
	s_mov_b32 s15, exec_lo
	v_add_nc_u64_e32 v[12:13], s[10:11], v[16:17]
	v_cmp_gt_i64_e32 vcc_lo, v[16:17], v[6:7]
	s_delay_alu instid0(VALU_DEP_2) | instskip(SKIP_2) | instid1(SALU_CYCLE_1)
	v_cmp_ge_i64_e64 s0, v[6:7], v[12:13]
	v_mov_b32_e32 v13, s14
	s_or_b32 s0, vcc_lo, s0
	v_cndmask_b32_e64 v12, 0, 1, s0
	s_delay_alu instid0(VALU_DEP_1) | instskip(NEXT) | instid1(VALU_DEP_1)
	v_add_nc_u64_e32 v[8:9], v[8:9], v[12:13]
	v_cmpx_le_i64_e64 v[8:9], v[10:11]
	s_cbranch_execz .LBB1_75
; %bb.73:
	global_load_u8 v1, v2, s[4:5]
	v_mul_u64_e32 v[12:13], s[12:13], v[8:9]
	v_mul_u64_e32 v[16:17], s[16:17], v[8:9]
	s_mul_u64 s[0:1], s[12:13], s[18:19]
	s_delay_alu instid0(SALU_CYCLE_1) | instskip(NEXT) | instid1(VALU_DEP_2)
	s_sub_nc_u64 s[0:1], s[16:17], s[0:1]
	v_sub_nc_u64_e32 v[6:7], v[6:7], v[12:13]
	s_delay_alu instid0(VALU_DEP_1) | instskip(NEXT) | instid1(VALU_DEP_1)
	v_mad_nc_u64_u32 v[12:13], s18, v6, v[16:17]
	v_mad_u32 v3, s19, v6, v13
	s_delay_alu instid0(VALU_DEP_1) | instskip(SKIP_1) | instid1(VALU_DEP_1)
	v_mad_u32 v13, s18, v7, v3
	v_mov_b32_e32 v3, 0
	v_mov_b32_e32 v5, v3
	s_wait_xcnt 0x0
	v_add_nc_u64_e32 v[2:3], s[4:5], v[2:3]
	s_delay_alu instid0(VALU_DEP_2) | instskip(SKIP_1) | instid1(VALU_DEP_2)
	v_add_nc_u64_e32 v[6:7], v[12:13], v[4:5]
	v_add_nc_u64_e32 v[4:5], -1, v[8:9]
	v_add_nc_u64_e32 v[6:7], s[6:7], v[6:7]
.LBB1_74:                               ; =>This Inner Loop Header: Depth=1
	global_load_u8 v8, v[6:7], off
	v_add_nc_u64_e32 v[4:5], 1, v[4:5]
	s_wait_xcnt 0x0
	v_add_nc_u64_e32 v[6:7], s[0:1], v[6:7]
	s_delay_alu instid0(VALU_DEP_2)
	v_cmp_ge_i64_e32 vcc_lo, v[4:5], v[10:11]
	s_or_b32 s14, vcc_lo, s14
	s_wait_loadcnt 0x0
	v_add_nc_u16 v1, v8, v1
	global_store_b8 v[2:3], v1, off
	s_wait_xcnt 0x0
	s_and_not1_b32 exec_lo, exec_lo, s14
	s_cbranch_execnz .LBB1_74
.LBB1_75:
	s_or_b32 exec_lo, exec_lo, s15
	v_add_nc_u32_e32 v0, 0x100, v0
	s_or_b32 exec_lo, exec_lo, s29
	s_delay_alu instid0(SALU_CYCLE_1) | instskip(NEXT) | instid1(VALU_DEP_1)
	s_mov_b32 s0, exec_lo
	v_cmpx_gt_i32_e64 s31, v0
	s_cbranch_execz .LBB1_99
.LBB1_76:
	v_cmp_ne_u32_e32 vcc_lo, 1, v14
	s_cbranch_vccnz .LBB1_83
; %bb.77:
	v_dual_mov_b32 v3, 0 :: v_dual_mov_b32 v4, 0
	v_mov_b32_e32 v2, 0
	s_and_not1_b32 vcc_lo, exec_lo, s33
	s_cbranch_vccnz .LBB1_82
; %bb.78:
	v_dual_mov_b32 v2, 0 :: v_dual_mov_b32 v1, v0
	v_dual_mov_b32 v4, 0 :: v_dual_mov_b32 v3, 0
	s_add_co_i32 s14, s22, 1
	s_mov_b64 s[0:1], 0xffffffffffffffe8
	s_and_b32 s14, s14, 30
	s_add_nc_u64 s[0:1], s[40:41], s[0:1]
.LBB1_79:                               ; =>This Inner Loop Header: Depth=1
	s_clause 0x1
	s_load_b128 s[40:43], s[0:1], 0x1c
	s_load_b64 s[48:49], s[0:1], 0x2c
	s_add_co_i32 s14, s14, -2
	s_delay_alu instid0(SALU_CYCLE_1) | instskip(SKIP_2) | instid1(VALU_DEP_1)
	s_cmp_eq_u32 s14, 0
	s_wait_kmcnt 0x0
	v_mul_hi_u32 v5, s41, v1
	v_add_nc_u32_e32 v5, v1, v5
	s_delay_alu instid0(VALU_DEP_1) | instskip(NEXT) | instid1(VALU_DEP_1)
	v_lshrrev_b32_e32 v5, s42, v5
	v_mul_hi_u32 v6, s48, v5
	v_mul_lo_u32 v7, v5, s40
	s_clause 0x1
	s_load_b128 s[44:47], s[0:1], 0xdc
	s_load_b64 s[40:41], s[0:1], 0xec
	s_wait_xcnt 0x0
	s_add_nc_u64 s[0:1], s[0:1], 24
	s_delay_alu instid0(VALU_DEP_2) | instskip(NEXT) | instid1(VALU_DEP_1)
	v_add_nc_u32_e32 v6, v5, v6
	v_dual_sub_nc_u32 v7, v1, v7 :: v_dual_lshrrev_b32 v1, s49, v6
	s_wait_kmcnt 0x0
	s_delay_alu instid0(VALU_DEP_1) | instskip(NEXT) | instid1(VALU_DEP_2)
	v_mad_u32 v2, v7, s44, v2
	v_mul_lo_u32 v6, v1, s43
	v_mad_u32 v3, v7, s46, v3
	v_mad_u32 v4, v7, s45, v4
	s_delay_alu instid0(VALU_DEP_3) | instskip(NEXT) | instid1(VALU_DEP_1)
	v_sub_nc_u32_e32 v5, v5, v6
	v_mad_u32 v2, v5, s47, v2
	s_delay_alu instid0(VALU_DEP_4) | instskip(NEXT) | instid1(VALU_DEP_4)
	v_mad_u32 v3, v5, s41, v3
	v_mad_u32 v4, v5, s40, v4
	s_cbranch_scc0 .LBB1_79
; %bb.80:
	s_bitcmp1_b32 s22, 0
	s_cselect_b32 s14, -1, 0
	s_delay_alu instid0(SALU_CYCLE_1)
	s_and_b32 vcc_lo, exec_lo, s14
	s_cbranch_vccnz .LBB1_82
; %bb.81:
	s_clause 0x1
	s_load_b96 s[40:42], s[0:1], 0x1c
	s_load_b96 s[44:46], s[0:1], 0xdc
	s_wait_kmcnt 0x0
	v_mul_hi_u32 v5, s41, v1
	s_delay_alu instid0(VALU_DEP_1) | instskip(NEXT) | instid1(VALU_DEP_1)
	v_add_nc_u32_e32 v5, v1, v5
	v_lshrrev_b32_e32 v5, s42, v5
	s_delay_alu instid0(VALU_DEP_1) | instskip(NEXT) | instid1(VALU_DEP_1)
	v_mul_lo_u32 v5, v5, s40
	v_sub_nc_u32_e32 v1, v1, v5
	s_delay_alu instid0(VALU_DEP_1)
	v_mad_u32 v2, v1, s44, v2
	v_mad_u32 v4, v1, s45, v4
	v_mad_u32 v3, v1, s46, v3
.LBB1_82:
	s_cbranch_execz .LBB1_84
	s_branch .LBB1_86
.LBB1_83:
                                        ; implicit-def: $vgpr3
                                        ; implicit-def: $vgpr4
                                        ; implicit-def: $vgpr2
.LBB1_84:
	v_mov_b32_e32 v1, 0
	s_and_not1_b32 vcc_lo, exec_lo, s20
	s_delay_alu instid0(VALU_DEP_1) | instskip(NEXT) | instid1(VALU_DEP_1)
	v_mul_u64_e32 v[2:3], s[36:37], v[0:1]
	v_add_nc_u32_e32 v2, v0, v3
	s_delay_alu instid0(VALU_DEP_1) | instskip(NEXT) | instid1(VALU_DEP_1)
	v_lshrrev_b32_e32 v6, s23, v2
	v_mul_lo_u32 v2, v6, s21
	s_delay_alu instid0(VALU_DEP_1) | instskip(NEXT) | instid1(VALU_DEP_1)
	v_sub_nc_u32_e32 v0, v0, v2
	v_mul_lo_u32 v2, v0, s24
	v_mul_lo_u32 v3, v0, s26
	;; [unrolled: 1-line block ×3, first 2 shown]
	s_cbranch_vccnz .LBB1_86
; %bb.85:
	v_mov_b32_e32 v7, v1
	s_delay_alu instid0(VALU_DEP_1) | instskip(NEXT) | instid1(VALU_DEP_1)
	v_mul_u64_e32 v[0:1], s[38:39], v[6:7]
	v_add_nc_u32_e32 v0, v6, v1
	s_delay_alu instid0(VALU_DEP_1) | instskip(NEXT) | instid1(VALU_DEP_1)
	v_lshrrev_b32_e32 v0, s30, v0
	v_mul_lo_u32 v0, v0, s28
	s_delay_alu instid0(VALU_DEP_1) | instskip(NEXT) | instid1(VALU_DEP_1)
	v_sub_nc_u32_e32 v0, v6, v0
	v_mad_u32 v2, v0, s27, v2
	v_mad_u32 v4, v0, s34, v4
	;; [unrolled: 1-line block ×3, first 2 shown]
.LBB1_86:
	global_load_b64 v[0:1], v3, s[8:9]
	v_mov_b64_e32 v[6:7], 0
	s_mov_b32 s1, exec_lo
	s_wait_loadcnt 0x0
	v_cmpx_lt_i64_e64 s[10:11], v[0:1]
	s_cbranch_execz .LBB1_92
; %bb.87:
	v_sub_nc_u64_e64 v[10:11], v[0:1], s[10:11]
                                        ; implicit-def: $vgpr6_vgpr7
	s_mov_b32 s0, exec_lo
	s_delay_alu instid0(VALU_DEP_1) | instskip(NEXT) | instid1(VALU_DEP_1)
	v_dual_mov_b32 v8, 0 :: v_dual_bitop2_b32 v9, s13, v11 bitop3:0x54
	v_cmpx_ne_u64_e32 0, v[8:9]
	s_xor_b32 s20, exec_lo, s0
	s_cbranch_execz .LBB1_89
; %bb.88:
	s_ashr_i32 s8, s13, 31
	s_mov_b32 s29, 0
	s_mov_b32 s9, s8
	v_dual_mov_b32 v13, v8 :: v_dual_ashrrev_i32 v6, 31, v11
	s_add_nc_u64 s[14:15], s[12:13], s[8:9]
	v_mov_b32_e32 v15, v8
	s_xor_b64 s[14:15], s[14:15], s[8:9]
	s_delay_alu instid0(VALU_DEP_2)
	v_mov_b32_e32 v7, v6
	s_cvt_f32_u32 s0, s14
	s_cvt_f32_u32 s9, s15
	s_sub_nc_u64 s[24:25], 0, s[14:15]
	v_mov_b32_e32 v21, v8
	v_add_nc_u64_e32 v[10:11], v[10:11], v[6:7]
	s_fmamk_f32 s0, s9, 0x4f800000, s0
	v_mov_b32_e32 v9, v8
	s_delay_alu instid0(SALU_CYCLE_2) | instskip(NEXT) | instid1(VALU_DEP_2)
	v_s_rcp_f32 s0, s0
	v_xor_b32_e32 v12, v10, v6
	s_delay_alu instid0(VALU_DEP_3) | instskip(SKIP_1) | instid1(TRANS32_DEP_1)
	v_xor_b32_e32 v14, v11, v6
	v_xor_b32_e32 v6, s8, v6
	s_mul_f32 s0, s0, 0x5f7ffffc
	s_delay_alu instid0(SALU_CYCLE_3) | instskip(NEXT) | instid1(SALU_CYCLE_3)
	s_mul_f32 s9, s0, 0x2f800000
	s_trunc_f32 s9, s9
	s_delay_alu instid0(SALU_CYCLE_3) | instskip(SKIP_1) | instid1(SALU_CYCLE_2)
	s_fmamk_f32 s0, s9, 0xcf800000, s0
	s_cvt_u32_f32 s23, s9
	s_cvt_u32_f32 s22, s0
	s_delay_alu instid0(SALU_CYCLE_3) | instskip(NEXT) | instid1(SALU_CYCLE_1)
	s_mul_u64 s[26:27], s[24:25], s[22:23]
	s_mul_hi_u32 s31, s22, s27
	s_mul_i32 s30, s22, s27
	s_mul_hi_u32 s28, s22, s26
	s_mul_i32 s9, s23, s26
	s_add_nc_u64 s[30:31], s[28:29], s[30:31]
	s_mul_hi_u32 s0, s23, s26
	s_mul_hi_u32 s21, s23, s27
	s_add_co_u32 s9, s30, s9
	s_add_co_ci_u32 s28, s31, s0
	s_mul_i32 s26, s23, s27
	s_add_co_ci_u32 s27, s21, 0
	s_delay_alu instid0(SALU_CYCLE_1) | instskip(NEXT) | instid1(SALU_CYCLE_1)
	s_add_nc_u64 s[26:27], s[28:29], s[26:27]
	s_add_co_u32 s22, s22, s26
	s_cselect_b32 s0, -1, 0
	s_delay_alu instid0(SALU_CYCLE_1) | instskip(SKIP_1) | instid1(SALU_CYCLE_1)
	s_cmp_lg_u32 s0, 0
	s_add_co_ci_u32 s23, s23, s27
	s_mul_u64 s[24:25], s[24:25], s[22:23]
	s_delay_alu instid0(SALU_CYCLE_1)
	s_mul_hi_u32 s27, s22, s25
	s_mul_i32 s26, s22, s25
	s_mul_hi_u32 s28, s22, s24
	s_mul_i32 s9, s23, s24
	s_add_nc_u64 s[26:27], s[28:29], s[26:27]
	s_mul_hi_u32 s0, s23, s24
	s_mul_hi_u32 s21, s23, s25
	s_add_co_u32 s9, s26, s9
	s_add_co_ci_u32 s28, s27, s0
	s_mul_i32 s24, s23, s25
	s_add_co_ci_u32 s25, s21, 0
	s_delay_alu instid0(SALU_CYCLE_1) | instskip(NEXT) | instid1(SALU_CYCLE_1)
	s_add_nc_u64 s[24:25], s[28:29], s[24:25]
	s_add_co_u32 s0, s22, s24
	s_cselect_b32 s9, -1, 0
	v_mul_hi_u32 v20, v12, s0
	s_cmp_lg_u32 s9, 0
	s_add_co_ci_u32 s28, s23, s25
	s_mov_b64 s[22:23], 0xffffffff
	v_mul_u64_e32 v[16:17], s[28:29], v[12:13]
	s_and_b64 s[22:23], s[0:1], s[22:23]
	v_mul_u64_e32 v[18:19], s[28:29], v[14:15]
	v_mul_u64_e32 v[10:11], s[22:23], v[14:15]
	s_delay_alu instid0(VALU_DEP_3) | instskip(NEXT) | instid1(VALU_DEP_1)
	v_add_nc_u64_e32 v[16:17], v[20:21], v[16:17]
	v_add_co_u32 v3, vcc_lo, v16, v10
	s_delay_alu instid0(VALU_DEP_2) | instskip(SKIP_1) | instid1(VALU_DEP_1)
	v_add_co_ci_u32_e32 v8, vcc_lo, v17, v11, vcc_lo
	v_add_co_ci_u32_e32 v19, vcc_lo, 0, v19, vcc_lo
	v_add_nc_u64_e32 v[8:9], v[8:9], v[18:19]
	s_delay_alu instid0(VALU_DEP_1) | instskip(NEXT) | instid1(VALU_DEP_1)
	v_mul_u64_e32 v[10:11], s[14:15], v[8:9]
	v_sub_nc_u32_e32 v3, v14, v11
	s_delay_alu instid0(VALU_DEP_2) | instskip(NEXT) | instid1(VALU_DEP_1)
	v_sub_co_u32 v5, vcc_lo, v12, v10
	v_sub_co_ci_u32_e64 v14, null, v14, v11, vcc_lo
	s_delay_alu instid0(VALU_DEP_3) | instskip(NEXT) | instid1(VALU_DEP_3)
	v_subrev_co_ci_u32_e64 v3, null, s15, v3, vcc_lo
	v_sub_co_u32 v7, s0, v5, s14
	v_add_nc_u64_e32 v[12:13], 1, v[8:9]
	s_delay_alu instid0(VALU_DEP_3) | instskip(NEXT) | instid1(VALU_DEP_3)
	v_subrev_co_ci_u32_e64 v3, null, 0, v3, s0
	v_cmp_le_u32_e32 vcc_lo, s14, v7
	v_cndmask_b32_e64 v7, 0, -1, vcc_lo
	s_delay_alu instid0(VALU_DEP_3)
	v_cmp_le_u32_e32 vcc_lo, s15, v3
	v_cndmask_b32_e64 v10, 0, -1, vcc_lo
	v_cmp_le_u32_e32 vcc_lo, s14, v5
	v_cndmask_b32_e64 v5, 0, -1, vcc_lo
	;; [unrolled: 2-line block ×3, first 2 shown]
	v_cmp_eq_u32_e32 vcc_lo, s15, v3
	v_cndmask_b32_e32 v3, v10, v7, vcc_lo
	v_cmp_eq_u32_e32 vcc_lo, s15, v14
	v_add_nc_u64_e32 v[10:11], 2, v[8:9]
	v_cndmask_b32_e32 v5, v15, v5, vcc_lo
	s_delay_alu instid0(VALU_DEP_4) | instskip(NEXT) | instid1(VALU_DEP_2)
	v_cmp_ne_u32_e32 vcc_lo, 0, v3
	v_cmp_ne_u32_e64 s0, 0, v5
	s_delay_alu instid0(VALU_DEP_4) | instskip(NEXT) | instid1(VALU_DEP_1)
	v_dual_cndmask_b32 v3, v13, v11, vcc_lo :: v_dual_cndmask_b32 v5, v12, v10, vcc_lo
                                        ; implicit-def: $vgpr10_vgpr11
	v_dual_cndmask_b32 v3, v9, v3, s0 :: v_dual_cndmask_b32 v5, v8, v5, s0
	s_delay_alu instid0(VALU_DEP_1) | instskip(NEXT) | instid1(VALU_DEP_2)
	v_dual_mov_b32 v7, v6 :: v_dual_bitop2_b32 v9, v3, v6 bitop3:0x14
	v_xor_b32_e32 v8, v5, v6
	s_delay_alu instid0(VALU_DEP_1)
	v_sub_nc_u64_e32 v[6:7], v[8:9], v[6:7]
.LBB1_89:
	s_and_not1_saveexec_b32 s0, s20
	s_cbranch_execz .LBB1_91
; %bb.90:
	v_cvt_f32_u32_e32 v3, s12
	s_sub_co_i32 s8, 0, s12
	s_delay_alu instid0(VALU_DEP_1) | instskip(SKIP_1) | instid1(TRANS32_DEP_1)
	v_rcp_iflag_f32_e32 v3, v3
	v_nop
	v_mul_f32_e32 v3, 0x4f7ffffe, v3
	s_delay_alu instid0(VALU_DEP_1) | instskip(NEXT) | instid1(VALU_DEP_1)
	v_cvt_u32_f32_e32 v3, v3
	v_mul_lo_u32 v5, s8, v3
	s_delay_alu instid0(VALU_DEP_1) | instskip(NEXT) | instid1(VALU_DEP_1)
	v_mul_hi_u32 v5, v3, v5
	v_add_nc_u32_e32 v3, v3, v5
	s_delay_alu instid0(VALU_DEP_1) | instskip(NEXT) | instid1(VALU_DEP_1)
	v_mul_hi_u32 v3, v10, v3
	v_mul_lo_u32 v5, v3, s12
	s_delay_alu instid0(VALU_DEP_1) | instskip(NEXT) | instid1(VALU_DEP_1)
	v_dual_add_nc_u32 v6, 1, v3 :: v_dual_sub_nc_u32 v5, v10, v5
	v_subrev_nc_u32_e32 v7, s12, v5
	v_cmp_le_u32_e32 vcc_lo, s12, v5
	s_delay_alu instid0(VALU_DEP_2) | instskip(NEXT) | instid1(VALU_DEP_4)
	v_dual_cndmask_b32 v5, v5, v7, vcc_lo :: v_dual_mov_b32 v7, 0
	v_cndmask_b32_e32 v3, v3, v6, vcc_lo
	s_delay_alu instid0(VALU_DEP_2) | instskip(NEXT) | instid1(VALU_DEP_2)
	v_cmp_le_u32_e32 vcc_lo, s12, v5
	v_add_nc_u32_e32 v6, 1, v3
	s_delay_alu instid0(VALU_DEP_1)
	v_cndmask_b32_e32 v6, v3, v6, vcc_lo
.LBB1_91:
	s_or_b32 exec_lo, exec_lo, s0
.LBB1_92:
	s_delay_alu instid0(SALU_CYCLE_1) | instskip(SKIP_2) | instid1(VALU_DEP_1)
	s_or_b32 exec_lo, exec_lo, s1
	v_dual_mov_b32 v8, 0 :: v_dual_bitop2_b32 v9, s13, v1 bitop3:0x54
                                        ; implicit-def: $vgpr10_vgpr11
	s_mov_b32 s0, exec_lo
	v_cmpx_ne_u64_e32 0, v[8:9]
	s_xor_b32 s1, exec_lo, s0
	s_cbranch_execz .LBB1_94
; %bb.93:
	s_ashr_i32 s8, s13, 31
	s_mov_b32 s27, 0
	s_mov_b32 s9, s8
	v_dual_mov_b32 v15, v8 :: v_dual_ashrrev_i32 v10, 31, v1
	s_add_nc_u64 s[14:15], s[12:13], s[8:9]
	v_dual_mov_b32 v23, v8 :: v_dual_mov_b32 v9, v8
	s_xor_b64 s[14:15], s[14:15], s[8:9]
	s_delay_alu instid0(VALU_DEP_2) | instskip(SKIP_3) | instid1(VALU_DEP_1)
	v_mov_b32_e32 v11, v10
	s_cvt_f32_u32 s0, s14
	s_cvt_f32_u32 s9, s15
	s_sub_nc_u64 s[22:23], 0, s[14:15]
	v_add_nc_u64_e32 v[12:13], v[0:1], v[10:11]
	s_delay_alu instid0(SALU_CYCLE_1) | instskip(SKIP_1) | instid1(SALU_CYCLE_2)
	s_fmamk_f32 s0, s9, 0x4f800000, s0
	v_mov_b32_e32 v17, v8
	v_s_rcp_f32 s0, s0
	s_delay_alu instid0(VALU_DEP_2) | instskip(NEXT) | instid1(VALU_DEP_3)
	v_xor_b32_e32 v14, v12, v10
	v_xor_b32_e32 v16, v13, v10
	;; [unrolled: 1-line block ×3, first 2 shown]
	s_delay_alu instid0(TRANS32_DEP_1) | instskip(NEXT) | instid1(SALU_CYCLE_3)
	s_mul_f32 s0, s0, 0x5f7ffffc
	s_mul_f32 s9, s0, 0x2f800000
	s_delay_alu instid0(SALU_CYCLE_3) | instskip(NEXT) | instid1(SALU_CYCLE_3)
	s_trunc_f32 s9, s9
	s_fmamk_f32 s0, s9, 0xcf800000, s0
	s_cvt_u32_f32 s21, s9
	s_delay_alu instid0(SALU_CYCLE_2) | instskip(NEXT) | instid1(SALU_CYCLE_3)
	s_cvt_u32_f32 s20, s0
	s_mul_u64 s[24:25], s[22:23], s[20:21]
	s_delay_alu instid0(SALU_CYCLE_1)
	s_mul_hi_u32 s29, s20, s25
	s_mul_i32 s28, s20, s25
	s_mul_hi_u32 s26, s20, s24
	s_mul_i32 s9, s21, s24
	s_add_nc_u64 s[28:29], s[26:27], s[28:29]
	s_mul_hi_u32 s0, s21, s24
	s_mul_hi_u32 s30, s21, s25
	s_add_co_u32 s9, s28, s9
	s_add_co_ci_u32 s26, s29, s0
	s_mul_i32 s24, s21, s25
	s_add_co_ci_u32 s25, s30, 0
	s_delay_alu instid0(SALU_CYCLE_1) | instskip(NEXT) | instid1(SALU_CYCLE_1)
	s_add_nc_u64 s[24:25], s[26:27], s[24:25]
	s_add_co_u32 s20, s20, s24
	s_cselect_b32 s0, -1, 0
	s_delay_alu instid0(SALU_CYCLE_1) | instskip(SKIP_1) | instid1(SALU_CYCLE_1)
	s_cmp_lg_u32 s0, 0
	s_add_co_ci_u32 s21, s21, s25
	s_mul_u64 s[22:23], s[22:23], s[20:21]
	s_delay_alu instid0(SALU_CYCLE_1)
	s_mul_hi_u32 s25, s20, s23
	s_mul_i32 s24, s20, s23
	s_mul_hi_u32 s26, s20, s22
	s_mul_i32 s9, s21, s22
	s_add_nc_u64 s[24:25], s[26:27], s[24:25]
	s_mul_hi_u32 s0, s21, s22
	s_mul_hi_u32 s28, s21, s23
	s_add_co_u32 s9, s24, s9
	s_add_co_ci_u32 s26, s25, s0
	s_mul_i32 s22, s21, s23
	s_add_co_ci_u32 s23, s28, 0
	s_delay_alu instid0(SALU_CYCLE_1) | instskip(NEXT) | instid1(SALU_CYCLE_1)
	s_add_nc_u64 s[22:23], s[26:27], s[22:23]
	s_add_co_u32 s0, s20, s22
	s_cselect_b32 s9, -1, 0
	v_mul_hi_u32 v22, v14, s0
	s_cmp_lg_u32 s9, 0
	s_add_co_ci_u32 s26, s21, s23
	s_mov_b64 s[20:21], 0xffffffff
	v_mul_u64_e32 v[18:19], s[26:27], v[14:15]
	s_and_b64 s[20:21], s[0:1], s[20:21]
	v_mul_u64_e32 v[20:21], s[26:27], v[16:17]
	v_mul_u64_e32 v[12:13], s[20:21], v[16:17]
	s_delay_alu instid0(VALU_DEP_3) | instskip(NEXT) | instid1(VALU_DEP_1)
	v_add_nc_u64_e32 v[18:19], v[22:23], v[18:19]
	v_add_co_u32 v3, vcc_lo, v18, v12
	s_delay_alu instid0(VALU_DEP_2) | instskip(SKIP_1) | instid1(VALU_DEP_1)
	v_add_co_ci_u32_e32 v8, vcc_lo, v19, v13, vcc_lo
	v_add_co_ci_u32_e32 v21, vcc_lo, 0, v21, vcc_lo
	v_add_nc_u64_e32 v[8:9], v[8:9], v[20:21]
	s_delay_alu instid0(VALU_DEP_1) | instskip(NEXT) | instid1(VALU_DEP_1)
	v_mul_u64_e32 v[12:13], s[14:15], v[8:9]
	v_sub_co_u32 v5, vcc_lo, v14, v12
	v_add_nc_u64_e32 v[14:15], 1, v[8:9]
	s_delay_alu instid0(VALU_DEP_3) | instskip(SKIP_1) | instid1(VALU_DEP_4)
	v_sub_nc_u32_e32 v3, v16, v13
	v_sub_co_ci_u32_e64 v16, null, v16, v13, vcc_lo
	v_sub_co_u32 v11, s0, v5, s14
	s_delay_alu instid0(VALU_DEP_3) | instskip(NEXT) | instid1(VALU_DEP_2)
	v_subrev_co_ci_u32_e64 v3, null, s15, v3, vcc_lo
	v_cmp_le_u32_e32 vcc_lo, s14, v11
	s_delay_alu instid0(VALU_DEP_2) | instskip(SKIP_1) | instid1(VALU_DEP_2)
	v_subrev_co_ci_u32_e64 v3, null, 0, v3, s0
	v_cndmask_b32_e64 v11, 0, -1, vcc_lo
	v_cmp_le_u32_e32 vcc_lo, s15, v3
	v_cndmask_b32_e64 v12, 0, -1, vcc_lo
	v_cmp_le_u32_e32 vcc_lo, s14, v5
	;; [unrolled: 2-line block ×3, first 2 shown]
	v_cndmask_b32_e64 v17, 0, -1, vcc_lo
	v_cmp_eq_u32_e32 vcc_lo, s15, v3
	v_cndmask_b32_e32 v3, v12, v11, vcc_lo
	v_cmp_eq_u32_e32 vcc_lo, s15, v16
	v_add_nc_u64_e32 v[12:13], 2, v[8:9]
	v_cndmask_b32_e32 v5, v17, v5, vcc_lo
	s_delay_alu instid0(VALU_DEP_4) | instskip(NEXT) | instid1(VALU_DEP_2)
	v_cmp_ne_u32_e32 vcc_lo, 0, v3
	v_cmp_ne_u32_e64 s0, 0, v5
	s_delay_alu instid0(VALU_DEP_4) | instskip(NEXT) | instid1(VALU_DEP_1)
	v_dual_cndmask_b32 v3, v15, v13, vcc_lo :: v_dual_cndmask_b32 v5, v14, v12, vcc_lo
	v_dual_cndmask_b32 v3, v9, v3, s0 :: v_dual_cndmask_b32 v5, v8, v5, s0
	s_delay_alu instid0(VALU_DEP_1) | instskip(NEXT) | instid1(VALU_DEP_2)
	v_dual_mov_b32 v11, v10 :: v_dual_bitop2_b32 v9, v3, v10 bitop3:0x14
	v_xor_b32_e32 v8, v5, v10
	s_delay_alu instid0(VALU_DEP_1)
	v_sub_nc_u64_e32 v[10:11], v[8:9], v[10:11]
.LBB1_94:
	s_and_not1_saveexec_b32 s0, s1
	s_cbranch_execz .LBB1_96
; %bb.95:
	v_cvt_f32_u32_e32 v3, s12
	s_sub_co_i32 s1, 0, s12
	v_mov_b32_e32 v11, 0
	s_delay_alu instid0(VALU_DEP_2) | instskip(SKIP_1) | instid1(TRANS32_DEP_1)
	v_rcp_iflag_f32_e32 v3, v3
	v_nop
	v_mul_f32_e32 v3, 0x4f7ffffe, v3
	s_delay_alu instid0(VALU_DEP_1) | instskip(NEXT) | instid1(VALU_DEP_1)
	v_cvt_u32_f32_e32 v3, v3
	v_mul_lo_u32 v5, s1, v3
	s_delay_alu instid0(VALU_DEP_1) | instskip(NEXT) | instid1(VALU_DEP_1)
	v_mul_hi_u32 v5, v3, v5
	v_add_nc_u32_e32 v3, v3, v5
	s_delay_alu instid0(VALU_DEP_1) | instskip(NEXT) | instid1(VALU_DEP_1)
	v_mul_hi_u32 v3, v0, v3
	v_mul_lo_u32 v5, v3, s12
	s_delay_alu instid0(VALU_DEP_1) | instskip(NEXT) | instid1(VALU_DEP_1)
	v_sub_nc_u32_e32 v5, v0, v5
	v_subrev_nc_u32_e32 v9, s12, v5
	v_cmp_le_u32_e32 vcc_lo, s12, v5
	s_delay_alu instid0(VALU_DEP_2) | instskip(NEXT) | instid1(VALU_DEP_1)
	v_dual_cndmask_b32 v5, v5, v9 :: v_dual_add_nc_u32 v8, 1, v3
	v_cndmask_b32_e32 v3, v3, v8, vcc_lo
	s_delay_alu instid0(VALU_DEP_2) | instskip(NEXT) | instid1(VALU_DEP_2)
	v_cmp_le_u32_e32 vcc_lo, s12, v5
	v_add_nc_u32_e32 v8, 1, v3
	s_delay_alu instid0(VALU_DEP_1)
	v_cndmask_b32_e32 v10, v3, v8, vcc_lo
.LBB1_96:
	s_or_b32 exec_lo, exec_lo, s0
	v_mul_u64_e32 v[12:13], s[12:13], v[6:7]
	s_delay_alu instid0(VALU_DEP_2) | instskip(SKIP_1) | instid1(VALU_DEP_2)
	v_min_i64 v[8:9], v[10:11], s[2:3]
	s_mov_b32 s2, 0
	v_add_nc_u64_e32 v[10:11], s[10:11], v[12:13]
	v_cmp_gt_i64_e32 vcc_lo, v[12:13], v[0:1]
	s_delay_alu instid0(VALU_DEP_2) | instskip(SKIP_2) | instid1(SALU_CYCLE_1)
	v_cmp_ge_i64_e64 s0, v[0:1], v[10:11]
	v_mov_b32_e32 v11, s2
	s_or_b32 s0, vcc_lo, s0
	v_cndmask_b32_e64 v10, 0, 1, s0
	s_delay_alu instid0(VALU_DEP_1) | instskip(NEXT) | instid1(VALU_DEP_1)
	v_add_nc_u64_e32 v[6:7], v[6:7], v[10:11]
	v_cmp_le_i64_e32 vcc_lo, v[6:7], v[8:9]
	s_and_b32 exec_lo, exec_lo, vcc_lo
	s_cbranch_execz .LBB1_99
; %bb.97:
	global_load_u8 v10, v2, s[4:5]
	v_mul_u64_e32 v[12:13], s[12:13], v[6:7]
	v_mul_u64_e32 v[14:15], s[16:17], v[6:7]
	v_mov_b32_e32 v3, 0
	s_mul_u64 s[0:1], s[12:13], s[18:19]
	s_delay_alu instid0(SALU_CYCLE_1) | instskip(NEXT) | instid1(VALU_DEP_1)
	s_sub_nc_u64 s[0:1], s[16:17], s[0:1]
	v_mov_b32_e32 v5, v3
	s_delay_alu instid0(VALU_DEP_4) | instskip(NEXT) | instid1(VALU_DEP_1)
	v_sub_nc_u64_e32 v[0:1], v[0:1], v[12:13]
	v_mad_nc_u64_u32 v[12:13], s18, v0, v[14:15]
	s_delay_alu instid0(VALU_DEP_1) | instskip(NEXT) | instid1(VALU_DEP_1)
	v_mad_u32 v0, s19, v0, v13
	v_mad_u32 v13, s18, v1, v0
	v_add_nc_u64_e32 v[0:1], s[4:5], v[2:3]
	s_wait_xcnt 0x0
	v_add_nc_u64_e32 v[2:3], -1, v[6:7]
	s_delay_alu instid0(VALU_DEP_3) | instskip(NEXT) | instid1(VALU_DEP_1)
	v_add_nc_u64_e32 v[4:5], v[12:13], v[4:5]
	v_add_nc_u64_e32 v[4:5], s[6:7], v[4:5]
.LBB1_98:                               ; =>This Inner Loop Header: Depth=1
	global_load_u8 v6, v[4:5], off
	v_add_nc_u64_e32 v[2:3], 1, v[2:3]
	s_wait_xcnt 0x0
	v_add_nc_u64_e32 v[4:5], s[0:1], v[4:5]
	s_delay_alu instid0(VALU_DEP_2)
	v_cmp_ge_i64_e32 vcc_lo, v[2:3], v[8:9]
	s_or_b32 s2, vcc_lo, s2
	s_wait_loadcnt 0x0
	v_add_nc_u16 v10, v6, v10
	global_store_b8 v[0:1], v10, off
	s_wait_xcnt 0x0
	s_and_not1_b32 exec_lo, exec_lo, s2
	s_cbranch_execnz .LBB1_98
.LBB1_99:
	s_endpgm
	.section	.rodata,"a",@progbits
	.p2align	6, 0x0
	.amdhsa_kernel _ZN2at6native12_GLOBAL__N_135_unfold_backward_elementwise_kernelILi256ELi4EZNS1_32_unfold_backward_internal_kernelIaEEvRNS_14TensorIteratorEllllllEUliE_EEviT1_
		.amdhsa_group_segment_fixed_size 0
		.amdhsa_private_segment_fixed_size 0
		.amdhsa_kernarg_size 464
		.amdhsa_user_sgpr_count 2
		.amdhsa_user_sgpr_dispatch_ptr 0
		.amdhsa_user_sgpr_queue_ptr 0
		.amdhsa_user_sgpr_kernarg_segment_ptr 1
		.amdhsa_user_sgpr_dispatch_id 0
		.amdhsa_user_sgpr_kernarg_preload_length 0
		.amdhsa_user_sgpr_kernarg_preload_offset 0
		.amdhsa_user_sgpr_private_segment_size 0
		.amdhsa_wavefront_size32 1
		.amdhsa_uses_dynamic_stack 0
		.amdhsa_enable_private_segment 0
		.amdhsa_system_sgpr_workgroup_id_x 1
		.amdhsa_system_sgpr_workgroup_id_y 0
		.amdhsa_system_sgpr_workgroup_id_z 0
		.amdhsa_system_sgpr_workgroup_info 0
		.amdhsa_system_vgpr_workitem_id 0
		.amdhsa_next_free_vgpr 28
		.amdhsa_next_free_sgpr 56
		.amdhsa_named_barrier_count 0
		.amdhsa_reserve_vcc 1
		.amdhsa_float_round_mode_32 0
		.amdhsa_float_round_mode_16_64 0
		.amdhsa_float_denorm_mode_32 3
		.amdhsa_float_denorm_mode_16_64 3
		.amdhsa_fp16_overflow 0
		.amdhsa_memory_ordered 1
		.amdhsa_forward_progress 1
		.amdhsa_inst_pref_size 76
		.amdhsa_round_robin_scheduling 0
		.amdhsa_exception_fp_ieee_invalid_op 0
		.amdhsa_exception_fp_denorm_src 0
		.amdhsa_exception_fp_ieee_div_zero 0
		.amdhsa_exception_fp_ieee_overflow 0
		.amdhsa_exception_fp_ieee_underflow 0
		.amdhsa_exception_fp_ieee_inexact 0
		.amdhsa_exception_int_div_zero 0
	.end_amdhsa_kernel
	.section	.text._ZN2at6native12_GLOBAL__N_135_unfold_backward_elementwise_kernelILi256ELi4EZNS1_32_unfold_backward_internal_kernelIaEEvRNS_14TensorIteratorEllllllEUliE_EEviT1_,"axG",@progbits,_ZN2at6native12_GLOBAL__N_135_unfold_backward_elementwise_kernelILi256ELi4EZNS1_32_unfold_backward_internal_kernelIaEEvRNS_14TensorIteratorEllllllEUliE_EEviT1_,comdat
.Lfunc_end1:
	.size	_ZN2at6native12_GLOBAL__N_135_unfold_backward_elementwise_kernelILi256ELi4EZNS1_32_unfold_backward_internal_kernelIaEEvRNS_14TensorIteratorEllllllEUliE_EEviT1_, .Lfunc_end1-_ZN2at6native12_GLOBAL__N_135_unfold_backward_elementwise_kernelILi256ELi4EZNS1_32_unfold_backward_internal_kernelIaEEvRNS_14TensorIteratorEllllllEUliE_EEviT1_
                                        ; -- End function
	.set _ZN2at6native12_GLOBAL__N_135_unfold_backward_elementwise_kernelILi256ELi4EZNS1_32_unfold_backward_internal_kernelIaEEvRNS_14TensorIteratorEllllllEUliE_EEviT1_.num_vgpr, 28
	.set _ZN2at6native12_GLOBAL__N_135_unfold_backward_elementwise_kernelILi256ELi4EZNS1_32_unfold_backward_internal_kernelIaEEvRNS_14TensorIteratorEllllllEUliE_EEviT1_.num_agpr, 0
	.set _ZN2at6native12_GLOBAL__N_135_unfold_backward_elementwise_kernelILi256ELi4EZNS1_32_unfold_backward_internal_kernelIaEEvRNS_14TensorIteratorEllllllEUliE_EEviT1_.numbered_sgpr, 56
	.set _ZN2at6native12_GLOBAL__N_135_unfold_backward_elementwise_kernelILi256ELi4EZNS1_32_unfold_backward_internal_kernelIaEEvRNS_14TensorIteratorEllllllEUliE_EEviT1_.num_named_barrier, 0
	.set _ZN2at6native12_GLOBAL__N_135_unfold_backward_elementwise_kernelILi256ELi4EZNS1_32_unfold_backward_internal_kernelIaEEvRNS_14TensorIteratorEllllllEUliE_EEviT1_.private_seg_size, 0
	.set _ZN2at6native12_GLOBAL__N_135_unfold_backward_elementwise_kernelILi256ELi4EZNS1_32_unfold_backward_internal_kernelIaEEvRNS_14TensorIteratorEllllllEUliE_EEviT1_.uses_vcc, 1
	.set _ZN2at6native12_GLOBAL__N_135_unfold_backward_elementwise_kernelILi256ELi4EZNS1_32_unfold_backward_internal_kernelIaEEvRNS_14TensorIteratorEllllllEUliE_EEviT1_.uses_flat_scratch, 0
	.set _ZN2at6native12_GLOBAL__N_135_unfold_backward_elementwise_kernelILi256ELi4EZNS1_32_unfold_backward_internal_kernelIaEEvRNS_14TensorIteratorEllllllEUliE_EEviT1_.has_dyn_sized_stack, 0
	.set _ZN2at6native12_GLOBAL__N_135_unfold_backward_elementwise_kernelILi256ELi4EZNS1_32_unfold_backward_internal_kernelIaEEvRNS_14TensorIteratorEllllllEUliE_EEviT1_.has_recursion, 0
	.set _ZN2at6native12_GLOBAL__N_135_unfold_backward_elementwise_kernelILi256ELi4EZNS1_32_unfold_backward_internal_kernelIaEEvRNS_14TensorIteratorEllllllEUliE_EEviT1_.has_indirect_call, 0
	.section	.AMDGPU.csdata,"",@progbits
; Kernel info:
; codeLenInByte = 9728
; TotalNumSgprs: 58
; NumVgprs: 28
; ScratchSize: 0
; MemoryBound: 0
; FloatMode: 240
; IeeeMode: 1
; LDSByteSize: 0 bytes/workgroup (compile time only)
; SGPRBlocks: 0
; VGPRBlocks: 1
; NumSGPRsForWavesPerEU: 58
; NumVGPRsForWavesPerEU: 28
; NamedBarCnt: 0
; Occupancy: 16
; WaveLimiterHint : 1
; COMPUTE_PGM_RSRC2:SCRATCH_EN: 0
; COMPUTE_PGM_RSRC2:USER_SGPR: 2
; COMPUTE_PGM_RSRC2:TRAP_HANDLER: 0
; COMPUTE_PGM_RSRC2:TGID_X_EN: 1
; COMPUTE_PGM_RSRC2:TGID_Y_EN: 0
; COMPUTE_PGM_RSRC2:TGID_Z_EN: 0
; COMPUTE_PGM_RSRC2:TIDIG_COMP_CNT: 0
	.section	.text._ZN2at6native12_GLOBAL__N_135_unfold_backward_elementwise_kernelILi256ELi4EZNS1_32_unfold_backward_internal_kernelIiEEvRNS_14TensorIteratorEllllllEUliE_EEviT1_,"axG",@progbits,_ZN2at6native12_GLOBAL__N_135_unfold_backward_elementwise_kernelILi256ELi4EZNS1_32_unfold_backward_internal_kernelIiEEvRNS_14TensorIteratorEllllllEUliE_EEviT1_,comdat
	.globl	_ZN2at6native12_GLOBAL__N_135_unfold_backward_elementwise_kernelILi256ELi4EZNS1_32_unfold_backward_internal_kernelIiEEvRNS_14TensorIteratorEllllllEUliE_EEviT1_ ; -- Begin function _ZN2at6native12_GLOBAL__N_135_unfold_backward_elementwise_kernelILi256ELi4EZNS1_32_unfold_backward_internal_kernelIiEEvRNS_14TensorIteratorEllllllEUliE_EEviT1_
	.p2align	8
	.type	_ZN2at6native12_GLOBAL__N_135_unfold_backward_elementwise_kernelILi256ELi4EZNS1_32_unfold_backward_internal_kernelIiEEvRNS_14TensorIteratorEllllllEUliE_EEviT1_,@function
_ZN2at6native12_GLOBAL__N_135_unfold_backward_elementwise_kernelILi256ELi4EZNS1_32_unfold_backward_internal_kernelIiEEvRNS_14TensorIteratorEllllllEUliE_EEviT1_: ; @_ZN2at6native12_GLOBAL__N_135_unfold_backward_elementwise_kernelILi256ELi4EZNS1_32_unfold_backward_internal_kernelIiEEvRNS_14TensorIteratorEllllllEUliE_EEviT1_
; %bb.0:
	s_clause 0x2
	s_load_b128 s[20:23], s[0:1], 0x8
	s_load_b32 s31, s[0:1], 0x0
	s_load_b512 s[4:19], s[0:1], 0x190
	s_bfe_u32 s3, ttmp6, 0x4000c
	s_clause 0x2
	s_load_b96 s[28:30], s[0:1], 0x18
	s_load_b128 s[24:27], s[0:1], 0xcc
	s_load_b64 s[34:35], s[0:1], 0xdc
	s_add_co_i32 s3, s3, 1
	s_and_b32 s2, ttmp6, 15
	s_mul_i32 s3, ttmp9, s3
	s_getreg_b32 s33, hwreg(HW_REG_IB_STS2, 6, 4)
	s_add_co_i32 s2, s2, s3
	s_add_nc_u64 s[40:41], s[0:1], 8
	s_cmp_eq_u32 s33, 0
	s_mov_b32 s37, 0
	s_cselect_b32 s2, ttmp9, s2
	s_mov_b32 s42, -1
	v_lshl_or_b32 v0, s2, 10, v0
	s_mov_b32 s39, s37
	s_wait_kmcnt 0x0
	v_sub_co_u32 v1, s3, s20, 1
	s_mov_b32 s36, s22
	s_xor_b32 s33, s3, -1
	s_mov_b32 s38, s29
	v_readfirstlane_b32 s1, v1
	v_cmp_lt_u32_e32 vcc_lo, 1, v1
	s_add_nc_u64 s[2:3], s[14:15], -1
	s_mov_b32 s29, exec_lo
	s_min_u32 s22, s1, 15
	v_cndmask_b32_e64 v14, 0, 1, vcc_lo
	s_cmp_gt_u32 s20, 1
	s_cselect_b32 s20, -1, 0
	v_cmpx_gt_i32_e64 s31, v0
	s_cbranch_execnz .LBB2_4
; %bb.1:
	s_or_b32 exec_lo, exec_lo, s29
	s_delay_alu instid0(SALU_CYCLE_1)
	s_mov_b32 s29, exec_lo
	v_cmpx_gt_i32_e64 s31, v0
	s_cbranch_execnz .LBB2_28
.LBB2_2:
	s_or_b32 exec_lo, exec_lo, s29
	s_delay_alu instid0(SALU_CYCLE_1)
	s_mov_b32 s29, exec_lo
	v_cmpx_gt_i32_e64 s31, v0
	s_cbranch_execnz .LBB2_52
.LBB2_3:
	s_or_b32 exec_lo, exec_lo, s29
	s_delay_alu instid0(SALU_CYCLE_1)
	s_mov_b32 s0, exec_lo
	v_cmpx_gt_i32_e64 s31, v0
	s_cbranch_execnz .LBB2_76
	s_branch .LBB2_99
.LBB2_4:
	s_and_not1_b32 vcc_lo, exec_lo, vcc_lo
                                        ; implicit-def: $vgpr3
                                        ; implicit-def: $vgpr4
                                        ; implicit-def: $vgpr2
	s_cbranch_vccnz .LBB2_11
; %bb.5:
	v_dual_mov_b32 v3, 0 :: v_dual_mov_b32 v4, 0
	v_mov_b32_e32 v2, 0
	s_and_not1_b32 vcc_lo, exec_lo, s33
	s_cbranch_vccnz .LBB2_10
; %bb.6:
	v_dual_mov_b32 v2, 0 :: v_dual_mov_b32 v1, v0
	v_dual_mov_b32 v4, 0 :: v_dual_mov_b32 v3, 0
	s_add_co_i32 s14, s22, 1
	s_mov_b64 s[0:1], 0xffffffffffffffe8
	s_and_b32 s14, s14, 30
	s_add_nc_u64 s[0:1], s[40:41], s[0:1]
.LBB2_7:                                ; =>This Inner Loop Header: Depth=1
	s_clause 0x1
	s_load_b128 s[44:47], s[0:1], 0x1c
	s_load_b64 s[42:43], s[0:1], 0x2c
	s_add_co_i32 s14, s14, -2
	s_delay_alu instid0(SALU_CYCLE_1) | instskip(SKIP_2) | instid1(VALU_DEP_1)
	s_cmp_lg_u32 s14, 0
	s_wait_kmcnt 0x0
	v_mul_hi_u32 v5, s45, v1
	v_add_nc_u32_e32 v5, v1, v5
	s_delay_alu instid0(VALU_DEP_1) | instskip(NEXT) | instid1(VALU_DEP_1)
	v_lshrrev_b32_e32 v5, s46, v5
	v_mul_hi_u32 v6, s42, v5
	v_mul_lo_u32 v7, v5, s44
	s_clause 0x1
	s_load_b128 s[48:51], s[0:1], 0xdc
	s_load_b64 s[44:45], s[0:1], 0xec
	s_wait_xcnt 0x0
	s_add_nc_u64 s[0:1], s[0:1], 24
	s_delay_alu instid0(VALU_DEP_2) | instskip(NEXT) | instid1(VALU_DEP_1)
	v_add_nc_u32_e32 v6, v5, v6
	v_dual_sub_nc_u32 v7, v1, v7 :: v_dual_lshrrev_b32 v1, s43, v6
	s_wait_kmcnt 0x0
	s_delay_alu instid0(VALU_DEP_1) | instskip(NEXT) | instid1(VALU_DEP_2)
	v_mad_u32 v2, v7, s48, v2
	v_mul_lo_u32 v6, v1, s47
	v_mad_u32 v3, v7, s50, v3
	v_mad_u32 v4, v7, s49, v4
	s_delay_alu instid0(VALU_DEP_3) | instskip(NEXT) | instid1(VALU_DEP_1)
	v_sub_nc_u32_e32 v5, v5, v6
	v_mad_u32 v2, v5, s51, v2
	s_delay_alu instid0(VALU_DEP_4) | instskip(NEXT) | instid1(VALU_DEP_4)
	v_mad_u32 v3, v5, s45, v3
	v_mad_u32 v4, v5, s44, v4
	s_cbranch_scc1 .LBB2_7
; %bb.8:
	s_bitcmp1_b32 s22, 0
	s_cselect_b32 s14, -1, 0
	s_delay_alu instid0(SALU_CYCLE_1)
	s_and_b32 vcc_lo, exec_lo, s14
	s_cbranch_vccnz .LBB2_10
; %bb.9:
	s_clause 0x1
	s_load_b96 s[44:46], s[0:1], 0x1c
	s_load_b96 s[48:50], s[0:1], 0xdc
	s_wait_kmcnt 0x0
	v_mul_hi_u32 v5, s45, v1
	s_delay_alu instid0(VALU_DEP_1) | instskip(NEXT) | instid1(VALU_DEP_1)
	v_add_nc_u32_e32 v5, v1, v5
	v_lshrrev_b32_e32 v5, s46, v5
	s_delay_alu instid0(VALU_DEP_1) | instskip(NEXT) | instid1(VALU_DEP_1)
	v_mul_lo_u32 v5, v5, s44
	v_sub_nc_u32_e32 v1, v1, v5
	s_delay_alu instid0(VALU_DEP_1)
	v_mad_u32 v2, v1, s48, v2
	v_mad_u32 v4, v1, s49, v4
	;; [unrolled: 1-line block ×3, first 2 shown]
.LBB2_10:
	s_mov_b32 s42, 0
.LBB2_11:
	s_delay_alu instid0(SALU_CYCLE_1)
	s_and_not1_b32 vcc_lo, exec_lo, s42
	s_cbranch_vccnz .LBB2_14
; %bb.12:
	v_mov_b32_e32 v1, 0
	s_and_not1_b32 vcc_lo, exec_lo, s20
	s_delay_alu instid0(VALU_DEP_1) | instskip(NEXT) | instid1(VALU_DEP_1)
	v_mul_u64_e32 v[2:3], s[36:37], v[0:1]
	v_add_nc_u32_e32 v2, v0, v3
	s_delay_alu instid0(VALU_DEP_1) | instskip(NEXT) | instid1(VALU_DEP_1)
	v_lshrrev_b32_e32 v6, s23, v2
	v_mul_lo_u32 v2, v6, s21
	s_delay_alu instid0(VALU_DEP_1) | instskip(NEXT) | instid1(VALU_DEP_1)
	v_sub_nc_u32_e32 v4, v0, v2
	v_mul_lo_u32 v2, v4, s24
	v_mul_lo_u32 v3, v4, s26
	;; [unrolled: 1-line block ×3, first 2 shown]
	s_cbranch_vccnz .LBB2_14
; %bb.13:
	v_mov_b32_e32 v7, v1
	s_delay_alu instid0(VALU_DEP_1) | instskip(NEXT) | instid1(VALU_DEP_1)
	v_mul_u64_e32 v[8:9], s[38:39], v[6:7]
	v_add_nc_u32_e32 v1, v6, v9
	s_delay_alu instid0(VALU_DEP_1) | instskip(NEXT) | instid1(VALU_DEP_1)
	v_lshrrev_b32_e32 v1, s30, v1
	v_mul_lo_u32 v1, v1, s28
	s_delay_alu instid0(VALU_DEP_1) | instskip(NEXT) | instid1(VALU_DEP_1)
	v_sub_nc_u32_e32 v1, v6, v1
	v_mad_u32 v2, v1, s27, v2
	v_mad_u32 v4, v1, s34, v4
	;; [unrolled: 1-line block ×3, first 2 shown]
.LBB2_14:
	global_load_b64 v[6:7], v3, s[8:9]
	v_mov_b64_e32 v[8:9], 0
	s_mov_b32 s1, exec_lo
	s_wait_loadcnt 0x0
	v_cmpx_lt_i64_e64 s[10:11], v[6:7]
	s_cbranch_execz .LBB2_20
; %bb.15:
	v_sub_nc_u64_e64 v[12:13], v[6:7], s[10:11]
                                        ; implicit-def: $vgpr8_vgpr9
	s_mov_b32 s0, exec_lo
	s_delay_alu instid0(VALU_DEP_1) | instskip(NEXT) | instid1(VALU_DEP_1)
	v_dual_mov_b32 v10, 0 :: v_dual_bitop2_b32 v11, s13, v13 bitop3:0x54
	v_cmpx_ne_u64_e32 0, v[10:11]
	s_xor_b32 s44, exec_lo, s0
	s_cbranch_execz .LBB2_17
; %bb.16:
	s_ashr_i32 s14, s13, 31
	s_mov_b32 s53, 0
	s_mov_b32 s15, s14
	v_dual_mov_b32 v17, v10 :: v_dual_ashrrev_i32 v8, 31, v13
	s_add_nc_u64 s[42:43], s[12:13], s[14:15]
	v_mov_b32_e32 v19, v10
	s_xor_b64 s[42:43], s[42:43], s[14:15]
	s_delay_alu instid0(VALU_DEP_2)
	v_mov_b32_e32 v9, v8
	s_cvt_f32_u32 s0, s42
	s_cvt_f32_u32 s15, s43
	s_sub_nc_u64 s[48:49], 0, s[42:43]
	v_mov_b32_e32 v25, v10
	v_add_nc_u64_e32 v[12:13], v[12:13], v[8:9]
	s_fmamk_f32 s0, s15, 0x4f800000, s0
	v_mov_b32_e32 v11, v10
	s_delay_alu instid0(SALU_CYCLE_2) | instskip(NEXT) | instid1(VALU_DEP_2)
	v_s_rcp_f32 s0, s0
	v_xor_b32_e32 v16, v12, v8
	s_delay_alu instid0(VALU_DEP_3) | instskip(SKIP_1) | instid1(TRANS32_DEP_1)
	v_xor_b32_e32 v18, v13, v8
	v_xor_b32_e32 v8, s14, v8
	s_mul_f32 s0, s0, 0x5f7ffffc
	s_delay_alu instid0(SALU_CYCLE_3) | instskip(NEXT) | instid1(SALU_CYCLE_3)
	s_mul_f32 s15, s0, 0x2f800000
	s_trunc_f32 s15, s15
	s_delay_alu instid0(SALU_CYCLE_3) | instskip(SKIP_1) | instid1(SALU_CYCLE_2)
	s_fmamk_f32 s0, s15, 0xcf800000, s0
	s_cvt_u32_f32 s47, s15
	s_cvt_u32_f32 s46, s0
	s_delay_alu instid0(SALU_CYCLE_3) | instskip(NEXT) | instid1(SALU_CYCLE_1)
	s_mul_u64 s[50:51], s[48:49], s[46:47]
	s_mul_hi_u32 s55, s46, s51
	s_mul_i32 s54, s46, s51
	s_mul_hi_u32 s52, s46, s50
	s_mul_i32 s15, s47, s50
	s_add_nc_u64 s[54:55], s[52:53], s[54:55]
	s_mul_hi_u32 s0, s47, s50
	s_mul_hi_u32 s45, s47, s51
	s_add_co_u32 s15, s54, s15
	s_add_co_ci_u32 s52, s55, s0
	s_mul_i32 s50, s47, s51
	s_add_co_ci_u32 s51, s45, 0
	s_delay_alu instid0(SALU_CYCLE_1) | instskip(NEXT) | instid1(SALU_CYCLE_1)
	s_add_nc_u64 s[50:51], s[52:53], s[50:51]
	s_add_co_u32 s46, s46, s50
	s_cselect_b32 s0, -1, 0
	s_delay_alu instid0(SALU_CYCLE_1) | instskip(SKIP_1) | instid1(SALU_CYCLE_1)
	s_cmp_lg_u32 s0, 0
	s_add_co_ci_u32 s47, s47, s51
	s_mul_u64 s[48:49], s[48:49], s[46:47]
	s_delay_alu instid0(SALU_CYCLE_1)
	s_mul_hi_u32 s51, s46, s49
	s_mul_i32 s50, s46, s49
	s_mul_hi_u32 s52, s46, s48
	s_mul_i32 s15, s47, s48
	s_add_nc_u64 s[50:51], s[52:53], s[50:51]
	s_mul_hi_u32 s0, s47, s48
	s_mul_hi_u32 s45, s47, s49
	s_add_co_u32 s15, s50, s15
	s_add_co_ci_u32 s52, s51, s0
	s_mul_i32 s48, s47, s49
	s_add_co_ci_u32 s49, s45, 0
	s_delay_alu instid0(SALU_CYCLE_1) | instskip(NEXT) | instid1(SALU_CYCLE_1)
	s_add_nc_u64 s[48:49], s[52:53], s[48:49]
	s_add_co_u32 s0, s46, s48
	s_cselect_b32 s15, -1, 0
	v_mul_hi_u32 v24, v16, s0
	s_cmp_lg_u32 s15, 0
	s_add_co_ci_u32 s52, s47, s49
	s_mov_b64 s[46:47], 0xffffffff
	v_mul_u64_e32 v[20:21], s[52:53], v[16:17]
	s_and_b64 s[46:47], s[0:1], s[46:47]
	v_mul_u64_e32 v[22:23], s[52:53], v[18:19]
	v_mul_u64_e32 v[12:13], s[46:47], v[18:19]
	s_delay_alu instid0(VALU_DEP_3) | instskip(NEXT) | instid1(VALU_DEP_1)
	v_add_nc_u64_e32 v[20:21], v[24:25], v[20:21]
	v_add_co_u32 v1, vcc_lo, v20, v12
	s_delay_alu instid0(VALU_DEP_2) | instskip(SKIP_1) | instid1(VALU_DEP_1)
	v_add_co_ci_u32_e32 v10, vcc_lo, v21, v13, vcc_lo
	v_add_co_ci_u32_e32 v23, vcc_lo, 0, v23, vcc_lo
	v_add_nc_u64_e32 v[10:11], v[10:11], v[22:23]
	s_delay_alu instid0(VALU_DEP_1) | instskip(NEXT) | instid1(VALU_DEP_1)
	v_mul_u64_e32 v[12:13], s[42:43], v[10:11]
	v_sub_nc_u32_e32 v1, v18, v13
	s_delay_alu instid0(VALU_DEP_2) | instskip(NEXT) | instid1(VALU_DEP_1)
	v_sub_co_u32 v3, vcc_lo, v16, v12
	v_sub_co_ci_u32_e64 v9, null, v18, v13, vcc_lo
	s_delay_alu instid0(VALU_DEP_3) | instskip(NEXT) | instid1(VALU_DEP_3)
	v_subrev_co_ci_u32_e64 v1, null, s43, v1, vcc_lo
	v_sub_co_u32 v5, s0, v3, s42
	v_add_nc_u64_e32 v[16:17], 1, v[10:11]
	s_delay_alu instid0(VALU_DEP_3) | instskip(NEXT) | instid1(VALU_DEP_3)
	v_subrev_co_ci_u32_e64 v1, null, 0, v1, s0
	v_cmp_le_u32_e32 vcc_lo, s42, v5
	v_cndmask_b32_e64 v5, 0, -1, vcc_lo
	s_delay_alu instid0(VALU_DEP_3)
	v_cmp_le_u32_e32 vcc_lo, s43, v1
	v_cndmask_b32_e64 v12, 0, -1, vcc_lo
	v_cmp_le_u32_e32 vcc_lo, s42, v3
	v_cndmask_b32_e64 v3, 0, -1, vcc_lo
	;; [unrolled: 2-line block ×3, first 2 shown]
	v_cmp_eq_u32_e32 vcc_lo, s43, v1
	v_cndmask_b32_e32 v1, v12, v5, vcc_lo
	v_cmp_eq_u32_e32 vcc_lo, s43, v9
	v_add_nc_u64_e32 v[12:13], 2, v[10:11]
	v_cndmask_b32_e32 v3, v15, v3, vcc_lo
	s_delay_alu instid0(VALU_DEP_4) | instskip(NEXT) | instid1(VALU_DEP_2)
	v_cmp_ne_u32_e32 vcc_lo, 0, v1
	v_cmp_ne_u32_e64 s0, 0, v3
	s_delay_alu instid0(VALU_DEP_4) | instskip(NEXT) | instid1(VALU_DEP_1)
	v_dual_cndmask_b32 v1, v17, v13, vcc_lo :: v_dual_cndmask_b32 v3, v16, v12, vcc_lo
                                        ; implicit-def: $vgpr12_vgpr13
	v_dual_cndmask_b32 v1, v11, v1, s0 :: v_dual_cndmask_b32 v3, v10, v3, s0
	s_delay_alu instid0(VALU_DEP_1) | instskip(NEXT) | instid1(VALU_DEP_2)
	v_dual_mov_b32 v9, v8 :: v_dual_bitop2_b32 v11, v1, v8 bitop3:0x14
	v_xor_b32_e32 v10, v3, v8
	s_delay_alu instid0(VALU_DEP_1)
	v_sub_nc_u64_e32 v[8:9], v[10:11], v[8:9]
.LBB2_17:
	s_and_not1_saveexec_b32 s0, s44
	s_cbranch_execz .LBB2_19
; %bb.18:
	v_cvt_f32_u32_e32 v1, s12
	s_sub_co_i32 s14, 0, s12
	v_mov_b32_e32 v9, 0
	s_delay_alu instid0(VALU_DEP_2) | instskip(SKIP_1) | instid1(TRANS32_DEP_1)
	v_rcp_iflag_f32_e32 v1, v1
	v_nop
	v_mul_f32_e32 v1, 0x4f7ffffe, v1
	s_delay_alu instid0(VALU_DEP_1) | instskip(NEXT) | instid1(VALU_DEP_1)
	v_cvt_u32_f32_e32 v1, v1
	v_mul_lo_u32 v3, s14, v1
	s_delay_alu instid0(VALU_DEP_1) | instskip(NEXT) | instid1(VALU_DEP_1)
	v_mul_hi_u32 v3, v1, v3
	v_add_nc_u32_e32 v1, v1, v3
	s_delay_alu instid0(VALU_DEP_1) | instskip(NEXT) | instid1(VALU_DEP_1)
	v_mul_hi_u32 v1, v12, v1
	v_mul_lo_u32 v3, v1, s12
	s_delay_alu instid0(VALU_DEP_1) | instskip(NEXT) | instid1(VALU_DEP_1)
	v_sub_nc_u32_e32 v3, v12, v3
	v_subrev_nc_u32_e32 v8, s12, v3
	v_cmp_le_u32_e32 vcc_lo, s12, v3
	s_delay_alu instid0(VALU_DEP_2) | instskip(NEXT) | instid1(VALU_DEP_1)
	v_dual_add_nc_u32 v5, 1, v1 :: v_dual_cndmask_b32 v3, v3, v8, vcc_lo
	v_cndmask_b32_e32 v1, v1, v5, vcc_lo
	s_delay_alu instid0(VALU_DEP_2) | instskip(NEXT) | instid1(VALU_DEP_2)
	v_cmp_le_u32_e32 vcc_lo, s12, v3
	v_add_nc_u32_e32 v5, 1, v1
	s_delay_alu instid0(VALU_DEP_1)
	v_cndmask_b32_e32 v8, v1, v5, vcc_lo
.LBB2_19:
	s_or_b32 exec_lo, exec_lo, s0
.LBB2_20:
	s_delay_alu instid0(SALU_CYCLE_1) | instskip(SKIP_2) | instid1(VALU_DEP_1)
	s_or_b32 exec_lo, exec_lo, s1
	v_dual_mov_b32 v10, 0 :: v_dual_bitop2_b32 v11, s13, v7 bitop3:0x54
                                        ; implicit-def: $vgpr12_vgpr13
	s_mov_b32 s0, exec_lo
	v_cmpx_ne_u64_e32 0, v[10:11]
	s_xor_b32 s1, exec_lo, s0
	s_cbranch_execz .LBB2_22
; %bb.21:
	s_ashr_i32 s14, s13, 31
	s_mov_b32 s51, 0
	s_mov_b32 s15, s14
	v_dual_mov_b32 v19, v10 :: v_dual_ashrrev_i32 v12, 31, v7
	s_add_nc_u64 s[42:43], s[12:13], s[14:15]
	v_mov_b32_e32 v21, v10
	s_xor_b64 s[42:43], s[42:43], s[14:15]
	s_delay_alu instid0(VALU_DEP_2)
	v_mov_b32_e32 v13, v12
	s_cvt_f32_u32 s0, s42
	s_cvt_f32_u32 s15, s43
	s_sub_nc_u64 s[46:47], 0, s[42:43]
	v_mov_b32_e32 v27, v10
	v_add_nc_u64_e32 v[16:17], v[6:7], v[12:13]
	s_fmamk_f32 s0, s15, 0x4f800000, s0
	v_mov_b32_e32 v11, v10
	s_delay_alu instid0(SALU_CYCLE_2) | instskip(NEXT) | instid1(VALU_DEP_2)
	v_s_rcp_f32 s0, s0
	v_xor_b32_e32 v18, v16, v12
	s_delay_alu instid0(VALU_DEP_3) | instskip(SKIP_1) | instid1(TRANS32_DEP_1)
	v_xor_b32_e32 v20, v17, v12
	v_xor_b32_e32 v12, s14, v12
	s_mul_f32 s0, s0, 0x5f7ffffc
	s_delay_alu instid0(SALU_CYCLE_3) | instskip(NEXT) | instid1(SALU_CYCLE_3)
	s_mul_f32 s15, s0, 0x2f800000
	s_trunc_f32 s15, s15
	s_delay_alu instid0(SALU_CYCLE_3) | instskip(SKIP_1) | instid1(SALU_CYCLE_2)
	s_fmamk_f32 s0, s15, 0xcf800000, s0
	s_cvt_u32_f32 s45, s15
	s_cvt_u32_f32 s44, s0
	s_delay_alu instid0(SALU_CYCLE_3) | instskip(NEXT) | instid1(SALU_CYCLE_1)
	s_mul_u64 s[48:49], s[46:47], s[44:45]
	s_mul_hi_u32 s53, s44, s49
	s_mul_i32 s52, s44, s49
	s_mul_hi_u32 s50, s44, s48
	s_mul_i32 s15, s45, s48
	s_add_nc_u64 s[52:53], s[50:51], s[52:53]
	s_mul_hi_u32 s0, s45, s48
	s_mul_hi_u32 s54, s45, s49
	s_add_co_u32 s15, s52, s15
	s_add_co_ci_u32 s50, s53, s0
	s_mul_i32 s48, s45, s49
	s_add_co_ci_u32 s49, s54, 0
	s_delay_alu instid0(SALU_CYCLE_1) | instskip(NEXT) | instid1(SALU_CYCLE_1)
	s_add_nc_u64 s[48:49], s[50:51], s[48:49]
	s_add_co_u32 s44, s44, s48
	s_cselect_b32 s0, -1, 0
	s_delay_alu instid0(SALU_CYCLE_1) | instskip(SKIP_1) | instid1(SALU_CYCLE_1)
	s_cmp_lg_u32 s0, 0
	s_add_co_ci_u32 s45, s45, s49
	s_mul_u64 s[46:47], s[46:47], s[44:45]
	s_delay_alu instid0(SALU_CYCLE_1)
	s_mul_hi_u32 s49, s44, s47
	s_mul_i32 s48, s44, s47
	s_mul_hi_u32 s50, s44, s46
	s_mul_i32 s15, s45, s46
	s_add_nc_u64 s[48:49], s[50:51], s[48:49]
	s_mul_hi_u32 s0, s45, s46
	s_mul_hi_u32 s52, s45, s47
	s_add_co_u32 s15, s48, s15
	s_add_co_ci_u32 s50, s49, s0
	s_mul_i32 s46, s45, s47
	s_add_co_ci_u32 s47, s52, 0
	s_delay_alu instid0(SALU_CYCLE_1) | instskip(NEXT) | instid1(SALU_CYCLE_1)
	s_add_nc_u64 s[46:47], s[50:51], s[46:47]
	s_add_co_u32 s0, s44, s46
	s_cselect_b32 s15, -1, 0
	v_mul_hi_u32 v26, v18, s0
	s_cmp_lg_u32 s15, 0
	s_add_co_ci_u32 s50, s45, s47
	s_mov_b64 s[44:45], 0xffffffff
	v_mul_u64_e32 v[22:23], s[50:51], v[18:19]
	s_and_b64 s[44:45], s[0:1], s[44:45]
	v_mul_u64_e32 v[24:25], s[50:51], v[20:21]
	v_mul_u64_e32 v[16:17], s[44:45], v[20:21]
	s_delay_alu instid0(VALU_DEP_3) | instskip(NEXT) | instid1(VALU_DEP_1)
	v_add_nc_u64_e32 v[22:23], v[26:27], v[22:23]
	v_add_co_u32 v1, vcc_lo, v22, v16
	s_delay_alu instid0(VALU_DEP_2) | instskip(SKIP_1) | instid1(VALU_DEP_1)
	v_add_co_ci_u32_e32 v10, vcc_lo, v23, v17, vcc_lo
	v_add_co_ci_u32_e32 v25, vcc_lo, 0, v25, vcc_lo
	v_add_nc_u64_e32 v[10:11], v[10:11], v[24:25]
	s_delay_alu instid0(VALU_DEP_1) | instskip(NEXT) | instid1(VALU_DEP_1)
	v_mul_u64_e32 v[16:17], s[42:43], v[10:11]
	v_sub_nc_u32_e32 v1, v20, v17
	s_delay_alu instid0(VALU_DEP_2) | instskip(NEXT) | instid1(VALU_DEP_1)
	v_sub_co_u32 v3, vcc_lo, v18, v16
	v_sub_co_ci_u32_e64 v13, null, v20, v17, vcc_lo
	s_delay_alu instid0(VALU_DEP_3) | instskip(NEXT) | instid1(VALU_DEP_3)
	v_subrev_co_ci_u32_e64 v1, null, s43, v1, vcc_lo
	v_sub_co_u32 v5, s0, v3, s42
	v_add_nc_u64_e32 v[16:17], 2, v[10:11]
	s_delay_alu instid0(VALU_DEP_3) | instskip(NEXT) | instid1(VALU_DEP_3)
	v_subrev_co_ci_u32_e64 v1, null, 0, v1, s0
	v_cmp_le_u32_e32 vcc_lo, s42, v5
	v_add_nc_u64_e32 v[18:19], 1, v[10:11]
	v_cndmask_b32_e64 v5, 0, -1, vcc_lo
	s_delay_alu instid0(VALU_DEP_4)
	v_cmp_le_u32_e32 vcc_lo, s43, v1
	v_cndmask_b32_e64 v15, 0, -1, vcc_lo
	v_cmp_le_u32_e32 vcc_lo, s42, v3
	v_cndmask_b32_e64 v3, 0, -1, vcc_lo
	;; [unrolled: 2-line block ×3, first 2 shown]
	v_cmp_eq_u32_e32 vcc_lo, s43, v1
	v_cndmask_b32_e32 v1, v15, v5, vcc_lo
	v_cmp_eq_u32_e32 vcc_lo, s43, v13
	s_delay_alu instid0(VALU_DEP_4) | instskip(NEXT) | instid1(VALU_DEP_3)
	v_cndmask_b32_e32 v3, v20, v3, vcc_lo
	v_cmp_ne_u32_e32 vcc_lo, 0, v1
	s_delay_alu instid0(VALU_DEP_2) | instskip(SKIP_1) | instid1(VALU_DEP_1)
	v_cmp_ne_u32_e64 s0, 0, v3
	v_dual_cndmask_b32 v1, v19, v17, vcc_lo :: v_dual_cndmask_b32 v3, v18, v16, vcc_lo
	v_dual_cndmask_b32 v1, v11, v1, s0 :: v_dual_cndmask_b32 v3, v10, v3, s0
	s_delay_alu instid0(VALU_DEP_1) | instskip(NEXT) | instid1(VALU_DEP_2)
	v_dual_mov_b32 v13, v12 :: v_dual_bitop2_b32 v11, v1, v12 bitop3:0x14
	v_xor_b32_e32 v10, v3, v12
	s_delay_alu instid0(VALU_DEP_1)
	v_sub_nc_u64_e32 v[12:13], v[10:11], v[12:13]
.LBB2_22:
	s_and_not1_saveexec_b32 s0, s1
	s_cbranch_execz .LBB2_24
; %bb.23:
	v_cvt_f32_u32_e32 v1, s12
	s_sub_co_i32 s1, 0, s12
	v_mov_b32_e32 v13, 0
	s_delay_alu instid0(VALU_DEP_2) | instskip(SKIP_1) | instid1(TRANS32_DEP_1)
	v_rcp_iflag_f32_e32 v1, v1
	v_nop
	v_mul_f32_e32 v1, 0x4f7ffffe, v1
	s_delay_alu instid0(VALU_DEP_1) | instskip(NEXT) | instid1(VALU_DEP_1)
	v_cvt_u32_f32_e32 v1, v1
	v_mul_lo_u32 v3, s1, v1
	s_delay_alu instid0(VALU_DEP_1) | instskip(NEXT) | instid1(VALU_DEP_1)
	v_mul_hi_u32 v3, v1, v3
	v_add_nc_u32_e32 v1, v1, v3
	s_delay_alu instid0(VALU_DEP_1) | instskip(NEXT) | instid1(VALU_DEP_1)
	v_mul_hi_u32 v1, v6, v1
	v_mul_lo_u32 v3, v1, s12
	s_delay_alu instid0(VALU_DEP_1) | instskip(NEXT) | instid1(VALU_DEP_1)
	v_sub_nc_u32_e32 v3, v6, v3
	v_subrev_nc_u32_e32 v10, s12, v3
	v_cmp_le_u32_e32 vcc_lo, s12, v3
	s_delay_alu instid0(VALU_DEP_2) | instskip(NEXT) | instid1(VALU_DEP_1)
	v_dual_add_nc_u32 v5, 1, v1 :: v_dual_cndmask_b32 v3, v3, v10, vcc_lo
	v_cndmask_b32_e32 v1, v1, v5, vcc_lo
	s_delay_alu instid0(VALU_DEP_2) | instskip(NEXT) | instid1(VALU_DEP_2)
	v_cmp_le_u32_e32 vcc_lo, s12, v3
	v_add_nc_u32_e32 v5, 1, v1
	s_delay_alu instid0(VALU_DEP_1)
	v_cndmask_b32_e32 v12, v1, v5, vcc_lo
.LBB2_24:
	s_or_b32 exec_lo, exec_lo, s0
	v_mul_u64_e32 v[16:17], s[12:13], v[8:9]
	s_delay_alu instid0(VALU_DEP_2) | instskip(SKIP_2) | instid1(VALU_DEP_2)
	v_min_i64 v[10:11], v[12:13], s[2:3]
	s_mov_b32 s14, 0
	s_mov_b32 s15, exec_lo
	v_add_nc_u64_e32 v[12:13], s[10:11], v[16:17]
	v_cmp_gt_i64_e32 vcc_lo, v[16:17], v[6:7]
	s_delay_alu instid0(VALU_DEP_2) | instskip(SKIP_2) | instid1(SALU_CYCLE_1)
	v_cmp_ge_i64_e64 s0, v[6:7], v[12:13]
	v_mov_b32_e32 v13, s14
	s_or_b32 s0, vcc_lo, s0
	v_cndmask_b32_e64 v12, 0, 1, s0
	s_delay_alu instid0(VALU_DEP_1) | instskip(NEXT) | instid1(VALU_DEP_1)
	v_add_nc_u64_e32 v[8:9], v[8:9], v[12:13]
	v_cmpx_le_i64_e64 v[8:9], v[10:11]
	s_cbranch_execz .LBB2_27
; %bb.25:
	global_load_b32 v1, v2, s[4:5]
	v_mul_u64_e32 v[12:13], s[12:13], v[8:9]
	v_mov_b32_e32 v3, 0
	s_mul_u64 s[0:1], s[12:13], s[18:19]
	s_lshl_b64 s[42:43], s[16:17], 2
	s_lshl_b64 s[0:1], s[0:1], 2
	s_delay_alu instid0(VALU_DEP_1) | instskip(SKIP_3) | instid1(VALU_DEP_4)
	v_mov_b32_e32 v5, v3
	s_wait_xcnt 0x0
	v_add_nc_u64_e32 v[2:3], s[4:5], v[2:3]
	s_sub_nc_u64 s[0:1], s[42:43], s[0:1]
	v_sub_nc_u64_e32 v[6:7], v[6:7], v[12:13]
	v_mul_u64_e32 v[12:13], s[16:17], v[8:9]
	s_delay_alu instid0(VALU_DEP_2) | instskip(NEXT) | instid1(VALU_DEP_2)
	v_mul_u64_e32 v[6:7], s[18:19], v[6:7]
	v_lshlrev_b64_e32 v[12:13], 2, v[12:13]
	s_delay_alu instid0(VALU_DEP_1) | instskip(NEXT) | instid1(VALU_DEP_1)
	v_lshl_add_u64 v[6:7], v[6:7], 2, v[12:13]
	v_add_nc_u64_e32 v[6:7], v[6:7], v[4:5]
	v_add_nc_u64_e32 v[4:5], -1, v[8:9]
	s_delay_alu instid0(VALU_DEP_2)
	v_add_nc_u64_e32 v[6:7], s[6:7], v[6:7]
.LBB2_26:                               ; =>This Inner Loop Header: Depth=1
	global_load_b32 v8, v[6:7], off
	v_add_nc_u64_e32 v[4:5], 1, v[4:5]
	s_wait_xcnt 0x0
	v_add_nc_u64_e32 v[6:7], s[0:1], v[6:7]
	s_delay_alu instid0(VALU_DEP_2)
	v_cmp_ge_i64_e32 vcc_lo, v[4:5], v[10:11]
	s_or_b32 s14, vcc_lo, s14
	s_wait_loadcnt 0x0
	v_add_nc_u32_e32 v1, v8, v1
	global_store_b32 v[2:3], v1, off
	s_wait_xcnt 0x0
	s_and_not1_b32 exec_lo, exec_lo, s14
	s_cbranch_execnz .LBB2_26
.LBB2_27:
	s_or_b32 exec_lo, exec_lo, s15
	v_add_nc_u32_e32 v0, 0x100, v0
	s_or_b32 exec_lo, exec_lo, s29
	s_delay_alu instid0(SALU_CYCLE_1) | instskip(NEXT) | instid1(VALU_DEP_1)
	s_mov_b32 s29, exec_lo
	v_cmpx_gt_i32_e64 s31, v0
	s_cbranch_execz .LBB2_2
.LBB2_28:
	v_cmp_ne_u32_e32 vcc_lo, 1, v14
	s_cbranch_vccnz .LBB2_35
; %bb.29:
	v_dual_mov_b32 v3, 0 :: v_dual_mov_b32 v4, 0
	v_mov_b32_e32 v2, 0
	s_and_not1_b32 vcc_lo, exec_lo, s33
	s_cbranch_vccnz .LBB2_34
; %bb.30:
	v_dual_mov_b32 v2, 0 :: v_dual_mov_b32 v1, v0
	v_dual_mov_b32 v4, 0 :: v_dual_mov_b32 v3, 0
	s_add_co_i32 s14, s22, 1
	s_mov_b64 s[0:1], 0xffffffffffffffe8
	s_and_b32 s14, s14, 30
	s_add_nc_u64 s[0:1], s[40:41], s[0:1]
.LBB2_31:                               ; =>This Inner Loop Header: Depth=1
	s_clause 0x1
	s_load_b128 s[44:47], s[0:1], 0x1c
	s_load_b64 s[42:43], s[0:1], 0x2c
	s_add_co_i32 s14, s14, -2
	s_delay_alu instid0(SALU_CYCLE_1) | instskip(SKIP_2) | instid1(VALU_DEP_1)
	s_cmp_eq_u32 s14, 0
	s_wait_kmcnt 0x0
	v_mul_hi_u32 v5, s45, v1
	v_add_nc_u32_e32 v5, v1, v5
	s_delay_alu instid0(VALU_DEP_1) | instskip(NEXT) | instid1(VALU_DEP_1)
	v_lshrrev_b32_e32 v5, s46, v5
	v_mul_hi_u32 v6, s42, v5
	v_mul_lo_u32 v7, v5, s44
	s_clause 0x1
	s_load_b128 s[48:51], s[0:1], 0xdc
	s_load_b64 s[44:45], s[0:1], 0xec
	s_wait_xcnt 0x0
	s_add_nc_u64 s[0:1], s[0:1], 24
	s_delay_alu instid0(VALU_DEP_2) | instskip(NEXT) | instid1(VALU_DEP_1)
	v_add_nc_u32_e32 v6, v5, v6
	v_dual_sub_nc_u32 v7, v1, v7 :: v_dual_lshrrev_b32 v1, s43, v6
	s_wait_kmcnt 0x0
	s_delay_alu instid0(VALU_DEP_1) | instskip(NEXT) | instid1(VALU_DEP_2)
	v_mad_u32 v2, v7, s48, v2
	v_mul_lo_u32 v6, v1, s47
	v_mad_u32 v3, v7, s50, v3
	v_mad_u32 v4, v7, s49, v4
	s_delay_alu instid0(VALU_DEP_3) | instskip(NEXT) | instid1(VALU_DEP_1)
	v_sub_nc_u32_e32 v5, v5, v6
	v_mad_u32 v2, v5, s51, v2
	s_delay_alu instid0(VALU_DEP_4) | instskip(NEXT) | instid1(VALU_DEP_4)
	v_mad_u32 v3, v5, s45, v3
	v_mad_u32 v4, v5, s44, v4
	s_cbranch_scc0 .LBB2_31
; %bb.32:
	s_bitcmp1_b32 s22, 0
	s_cselect_b32 s14, -1, 0
	s_delay_alu instid0(SALU_CYCLE_1)
	s_and_b32 vcc_lo, exec_lo, s14
	s_cbranch_vccnz .LBB2_34
; %bb.33:
	s_clause 0x1
	s_load_b96 s[44:46], s[0:1], 0x1c
	s_load_b96 s[48:50], s[0:1], 0xdc
	s_wait_kmcnt 0x0
	v_mul_hi_u32 v5, s45, v1
	s_delay_alu instid0(VALU_DEP_1) | instskip(NEXT) | instid1(VALU_DEP_1)
	v_add_nc_u32_e32 v5, v1, v5
	v_lshrrev_b32_e32 v5, s46, v5
	s_delay_alu instid0(VALU_DEP_1) | instskip(NEXT) | instid1(VALU_DEP_1)
	v_mul_lo_u32 v5, v5, s44
	v_sub_nc_u32_e32 v1, v1, v5
	s_delay_alu instid0(VALU_DEP_1)
	v_mad_u32 v2, v1, s48, v2
	v_mad_u32 v4, v1, s49, v4
	;; [unrolled: 1-line block ×3, first 2 shown]
.LBB2_34:
	s_cbranch_execz .LBB2_36
	s_branch .LBB2_38
.LBB2_35:
                                        ; implicit-def: $vgpr3
                                        ; implicit-def: $vgpr4
                                        ; implicit-def: $vgpr2
.LBB2_36:
	v_mov_b32_e32 v1, 0
	s_and_not1_b32 vcc_lo, exec_lo, s20
	s_delay_alu instid0(VALU_DEP_1) | instskip(NEXT) | instid1(VALU_DEP_1)
	v_mul_u64_e32 v[2:3], s[36:37], v[0:1]
	v_add_nc_u32_e32 v2, v0, v3
	s_delay_alu instid0(VALU_DEP_1) | instskip(NEXT) | instid1(VALU_DEP_1)
	v_lshrrev_b32_e32 v6, s23, v2
	v_mul_lo_u32 v2, v6, s21
	s_delay_alu instid0(VALU_DEP_1) | instskip(NEXT) | instid1(VALU_DEP_1)
	v_sub_nc_u32_e32 v4, v0, v2
	v_mul_lo_u32 v2, v4, s24
	v_mul_lo_u32 v3, v4, s26
	;; [unrolled: 1-line block ×3, first 2 shown]
	s_cbranch_vccnz .LBB2_38
; %bb.37:
	v_mov_b32_e32 v7, v1
	s_delay_alu instid0(VALU_DEP_1) | instskip(NEXT) | instid1(VALU_DEP_1)
	v_mul_u64_e32 v[8:9], s[38:39], v[6:7]
	v_add_nc_u32_e32 v1, v6, v9
	s_delay_alu instid0(VALU_DEP_1) | instskip(NEXT) | instid1(VALU_DEP_1)
	v_lshrrev_b32_e32 v1, s30, v1
	v_mul_lo_u32 v1, v1, s28
	s_delay_alu instid0(VALU_DEP_1) | instskip(NEXT) | instid1(VALU_DEP_1)
	v_sub_nc_u32_e32 v1, v6, v1
	v_mad_u32 v2, v1, s27, v2
	v_mad_u32 v4, v1, s34, v4
	;; [unrolled: 1-line block ×3, first 2 shown]
.LBB2_38:
	global_load_b64 v[6:7], v3, s[8:9]
	v_mov_b64_e32 v[8:9], 0
	s_mov_b32 s1, exec_lo
	s_wait_loadcnt 0x0
	v_cmpx_lt_i64_e64 s[10:11], v[6:7]
	s_cbranch_execz .LBB2_44
; %bb.39:
	v_sub_nc_u64_e64 v[12:13], v[6:7], s[10:11]
                                        ; implicit-def: $vgpr8_vgpr9
	s_mov_b32 s0, exec_lo
	s_delay_alu instid0(VALU_DEP_1) | instskip(NEXT) | instid1(VALU_DEP_1)
	v_dual_mov_b32 v10, 0 :: v_dual_bitop2_b32 v11, s13, v13 bitop3:0x54
	v_cmpx_ne_u64_e32 0, v[10:11]
	s_xor_b32 s44, exec_lo, s0
	s_cbranch_execz .LBB2_41
; %bb.40:
	s_ashr_i32 s14, s13, 31
	s_mov_b32 s53, 0
	s_mov_b32 s15, s14
	v_dual_mov_b32 v17, v10 :: v_dual_ashrrev_i32 v8, 31, v13
	s_add_nc_u64 s[42:43], s[12:13], s[14:15]
	v_mov_b32_e32 v19, v10
	s_xor_b64 s[42:43], s[42:43], s[14:15]
	s_delay_alu instid0(VALU_DEP_2)
	v_mov_b32_e32 v9, v8
	s_cvt_f32_u32 s0, s42
	s_cvt_f32_u32 s15, s43
	s_sub_nc_u64 s[48:49], 0, s[42:43]
	v_mov_b32_e32 v25, v10
	v_add_nc_u64_e32 v[12:13], v[12:13], v[8:9]
	s_fmamk_f32 s0, s15, 0x4f800000, s0
	v_mov_b32_e32 v11, v10
	s_delay_alu instid0(SALU_CYCLE_2) | instskip(NEXT) | instid1(VALU_DEP_2)
	v_s_rcp_f32 s0, s0
	v_xor_b32_e32 v16, v12, v8
	s_delay_alu instid0(VALU_DEP_3) | instskip(SKIP_1) | instid1(TRANS32_DEP_1)
	v_xor_b32_e32 v18, v13, v8
	v_xor_b32_e32 v8, s14, v8
	s_mul_f32 s0, s0, 0x5f7ffffc
	s_delay_alu instid0(SALU_CYCLE_3) | instskip(NEXT) | instid1(SALU_CYCLE_3)
	s_mul_f32 s15, s0, 0x2f800000
	s_trunc_f32 s15, s15
	s_delay_alu instid0(SALU_CYCLE_3) | instskip(SKIP_1) | instid1(SALU_CYCLE_2)
	s_fmamk_f32 s0, s15, 0xcf800000, s0
	s_cvt_u32_f32 s47, s15
	s_cvt_u32_f32 s46, s0
	s_delay_alu instid0(SALU_CYCLE_3) | instskip(NEXT) | instid1(SALU_CYCLE_1)
	s_mul_u64 s[50:51], s[48:49], s[46:47]
	s_mul_hi_u32 s55, s46, s51
	s_mul_i32 s54, s46, s51
	s_mul_hi_u32 s52, s46, s50
	s_mul_i32 s15, s47, s50
	s_add_nc_u64 s[54:55], s[52:53], s[54:55]
	s_mul_hi_u32 s0, s47, s50
	s_mul_hi_u32 s45, s47, s51
	s_add_co_u32 s15, s54, s15
	s_add_co_ci_u32 s52, s55, s0
	s_mul_i32 s50, s47, s51
	s_add_co_ci_u32 s51, s45, 0
	s_delay_alu instid0(SALU_CYCLE_1) | instskip(NEXT) | instid1(SALU_CYCLE_1)
	s_add_nc_u64 s[50:51], s[52:53], s[50:51]
	s_add_co_u32 s46, s46, s50
	s_cselect_b32 s0, -1, 0
	s_delay_alu instid0(SALU_CYCLE_1) | instskip(SKIP_1) | instid1(SALU_CYCLE_1)
	s_cmp_lg_u32 s0, 0
	s_add_co_ci_u32 s47, s47, s51
	s_mul_u64 s[48:49], s[48:49], s[46:47]
	s_delay_alu instid0(SALU_CYCLE_1)
	s_mul_hi_u32 s51, s46, s49
	s_mul_i32 s50, s46, s49
	s_mul_hi_u32 s52, s46, s48
	s_mul_i32 s15, s47, s48
	s_add_nc_u64 s[50:51], s[52:53], s[50:51]
	s_mul_hi_u32 s0, s47, s48
	s_mul_hi_u32 s45, s47, s49
	s_add_co_u32 s15, s50, s15
	s_add_co_ci_u32 s52, s51, s0
	s_mul_i32 s48, s47, s49
	s_add_co_ci_u32 s49, s45, 0
	s_delay_alu instid0(SALU_CYCLE_1) | instskip(NEXT) | instid1(SALU_CYCLE_1)
	s_add_nc_u64 s[48:49], s[52:53], s[48:49]
	s_add_co_u32 s0, s46, s48
	s_cselect_b32 s15, -1, 0
	v_mul_hi_u32 v24, v16, s0
	s_cmp_lg_u32 s15, 0
	s_add_co_ci_u32 s52, s47, s49
	s_mov_b64 s[46:47], 0xffffffff
	v_mul_u64_e32 v[20:21], s[52:53], v[16:17]
	s_and_b64 s[46:47], s[0:1], s[46:47]
	v_mul_u64_e32 v[22:23], s[52:53], v[18:19]
	v_mul_u64_e32 v[12:13], s[46:47], v[18:19]
	s_delay_alu instid0(VALU_DEP_3) | instskip(NEXT) | instid1(VALU_DEP_1)
	v_add_nc_u64_e32 v[20:21], v[24:25], v[20:21]
	v_add_co_u32 v1, vcc_lo, v20, v12
	s_delay_alu instid0(VALU_DEP_2) | instskip(SKIP_1) | instid1(VALU_DEP_1)
	v_add_co_ci_u32_e32 v10, vcc_lo, v21, v13, vcc_lo
	v_add_co_ci_u32_e32 v23, vcc_lo, 0, v23, vcc_lo
	v_add_nc_u64_e32 v[10:11], v[10:11], v[22:23]
	s_delay_alu instid0(VALU_DEP_1) | instskip(NEXT) | instid1(VALU_DEP_1)
	v_mul_u64_e32 v[12:13], s[42:43], v[10:11]
	v_sub_nc_u32_e32 v1, v18, v13
	s_delay_alu instid0(VALU_DEP_2) | instskip(NEXT) | instid1(VALU_DEP_1)
	v_sub_co_u32 v3, vcc_lo, v16, v12
	v_sub_co_ci_u32_e64 v9, null, v18, v13, vcc_lo
	s_delay_alu instid0(VALU_DEP_3) | instskip(NEXT) | instid1(VALU_DEP_3)
	v_subrev_co_ci_u32_e64 v1, null, s43, v1, vcc_lo
	v_sub_co_u32 v5, s0, v3, s42
	v_add_nc_u64_e32 v[16:17], 1, v[10:11]
	s_delay_alu instid0(VALU_DEP_3) | instskip(NEXT) | instid1(VALU_DEP_3)
	v_subrev_co_ci_u32_e64 v1, null, 0, v1, s0
	v_cmp_le_u32_e32 vcc_lo, s42, v5
	v_cndmask_b32_e64 v5, 0, -1, vcc_lo
	s_delay_alu instid0(VALU_DEP_3)
	v_cmp_le_u32_e32 vcc_lo, s43, v1
	v_cndmask_b32_e64 v12, 0, -1, vcc_lo
	v_cmp_le_u32_e32 vcc_lo, s42, v3
	v_cndmask_b32_e64 v3, 0, -1, vcc_lo
	;; [unrolled: 2-line block ×3, first 2 shown]
	v_cmp_eq_u32_e32 vcc_lo, s43, v1
	v_cndmask_b32_e32 v1, v12, v5, vcc_lo
	v_cmp_eq_u32_e32 vcc_lo, s43, v9
	v_add_nc_u64_e32 v[12:13], 2, v[10:11]
	v_cndmask_b32_e32 v3, v15, v3, vcc_lo
	s_delay_alu instid0(VALU_DEP_4) | instskip(NEXT) | instid1(VALU_DEP_2)
	v_cmp_ne_u32_e32 vcc_lo, 0, v1
	v_cmp_ne_u32_e64 s0, 0, v3
	s_delay_alu instid0(VALU_DEP_4) | instskip(NEXT) | instid1(VALU_DEP_1)
	v_dual_cndmask_b32 v1, v17, v13, vcc_lo :: v_dual_cndmask_b32 v3, v16, v12, vcc_lo
                                        ; implicit-def: $vgpr12_vgpr13
	v_dual_cndmask_b32 v1, v11, v1, s0 :: v_dual_cndmask_b32 v3, v10, v3, s0
	s_delay_alu instid0(VALU_DEP_1) | instskip(NEXT) | instid1(VALU_DEP_2)
	v_dual_mov_b32 v9, v8 :: v_dual_bitop2_b32 v11, v1, v8 bitop3:0x14
	v_xor_b32_e32 v10, v3, v8
	s_delay_alu instid0(VALU_DEP_1)
	v_sub_nc_u64_e32 v[8:9], v[10:11], v[8:9]
.LBB2_41:
	s_and_not1_saveexec_b32 s0, s44
	s_cbranch_execz .LBB2_43
; %bb.42:
	v_cvt_f32_u32_e32 v1, s12
	s_sub_co_i32 s14, 0, s12
	v_mov_b32_e32 v9, 0
	s_delay_alu instid0(VALU_DEP_2) | instskip(SKIP_1) | instid1(TRANS32_DEP_1)
	v_rcp_iflag_f32_e32 v1, v1
	v_nop
	v_mul_f32_e32 v1, 0x4f7ffffe, v1
	s_delay_alu instid0(VALU_DEP_1) | instskip(NEXT) | instid1(VALU_DEP_1)
	v_cvt_u32_f32_e32 v1, v1
	v_mul_lo_u32 v3, s14, v1
	s_delay_alu instid0(VALU_DEP_1) | instskip(NEXT) | instid1(VALU_DEP_1)
	v_mul_hi_u32 v3, v1, v3
	v_add_nc_u32_e32 v1, v1, v3
	s_delay_alu instid0(VALU_DEP_1) | instskip(NEXT) | instid1(VALU_DEP_1)
	v_mul_hi_u32 v1, v12, v1
	v_mul_lo_u32 v3, v1, s12
	s_delay_alu instid0(VALU_DEP_1) | instskip(NEXT) | instid1(VALU_DEP_1)
	v_sub_nc_u32_e32 v3, v12, v3
	v_subrev_nc_u32_e32 v8, s12, v3
	v_cmp_le_u32_e32 vcc_lo, s12, v3
	s_delay_alu instid0(VALU_DEP_2) | instskip(NEXT) | instid1(VALU_DEP_1)
	v_dual_add_nc_u32 v5, 1, v1 :: v_dual_cndmask_b32 v3, v3, v8, vcc_lo
	v_cndmask_b32_e32 v1, v1, v5, vcc_lo
	s_delay_alu instid0(VALU_DEP_2) | instskip(NEXT) | instid1(VALU_DEP_2)
	v_cmp_le_u32_e32 vcc_lo, s12, v3
	v_add_nc_u32_e32 v5, 1, v1
	s_delay_alu instid0(VALU_DEP_1)
	v_cndmask_b32_e32 v8, v1, v5, vcc_lo
.LBB2_43:
	s_or_b32 exec_lo, exec_lo, s0
.LBB2_44:
	s_delay_alu instid0(SALU_CYCLE_1) | instskip(SKIP_2) | instid1(VALU_DEP_1)
	s_or_b32 exec_lo, exec_lo, s1
	v_dual_mov_b32 v10, 0 :: v_dual_bitop2_b32 v11, s13, v7 bitop3:0x54
                                        ; implicit-def: $vgpr12_vgpr13
	s_mov_b32 s0, exec_lo
	v_cmpx_ne_u64_e32 0, v[10:11]
	s_xor_b32 s1, exec_lo, s0
	s_cbranch_execz .LBB2_46
; %bb.45:
	s_ashr_i32 s14, s13, 31
	s_mov_b32 s51, 0
	s_mov_b32 s15, s14
	v_dual_mov_b32 v19, v10 :: v_dual_ashrrev_i32 v12, 31, v7
	s_add_nc_u64 s[42:43], s[12:13], s[14:15]
	v_mov_b32_e32 v21, v10
	s_xor_b64 s[42:43], s[42:43], s[14:15]
	s_delay_alu instid0(VALU_DEP_2)
	v_mov_b32_e32 v13, v12
	s_cvt_f32_u32 s0, s42
	s_cvt_f32_u32 s15, s43
	s_sub_nc_u64 s[46:47], 0, s[42:43]
	v_mov_b32_e32 v27, v10
	v_add_nc_u64_e32 v[16:17], v[6:7], v[12:13]
	s_fmamk_f32 s0, s15, 0x4f800000, s0
	v_mov_b32_e32 v11, v10
	s_delay_alu instid0(SALU_CYCLE_2) | instskip(NEXT) | instid1(VALU_DEP_2)
	v_s_rcp_f32 s0, s0
	v_xor_b32_e32 v18, v16, v12
	s_delay_alu instid0(VALU_DEP_3) | instskip(SKIP_1) | instid1(TRANS32_DEP_1)
	v_xor_b32_e32 v20, v17, v12
	v_xor_b32_e32 v12, s14, v12
	s_mul_f32 s0, s0, 0x5f7ffffc
	s_delay_alu instid0(SALU_CYCLE_3) | instskip(NEXT) | instid1(SALU_CYCLE_3)
	s_mul_f32 s15, s0, 0x2f800000
	s_trunc_f32 s15, s15
	s_delay_alu instid0(SALU_CYCLE_3) | instskip(SKIP_1) | instid1(SALU_CYCLE_2)
	s_fmamk_f32 s0, s15, 0xcf800000, s0
	s_cvt_u32_f32 s45, s15
	s_cvt_u32_f32 s44, s0
	s_delay_alu instid0(SALU_CYCLE_3) | instskip(NEXT) | instid1(SALU_CYCLE_1)
	s_mul_u64 s[48:49], s[46:47], s[44:45]
	s_mul_hi_u32 s53, s44, s49
	s_mul_i32 s52, s44, s49
	s_mul_hi_u32 s50, s44, s48
	s_mul_i32 s15, s45, s48
	s_add_nc_u64 s[52:53], s[50:51], s[52:53]
	s_mul_hi_u32 s0, s45, s48
	s_mul_hi_u32 s54, s45, s49
	s_add_co_u32 s15, s52, s15
	s_add_co_ci_u32 s50, s53, s0
	s_mul_i32 s48, s45, s49
	s_add_co_ci_u32 s49, s54, 0
	s_delay_alu instid0(SALU_CYCLE_1) | instskip(NEXT) | instid1(SALU_CYCLE_1)
	s_add_nc_u64 s[48:49], s[50:51], s[48:49]
	s_add_co_u32 s44, s44, s48
	s_cselect_b32 s0, -1, 0
	s_delay_alu instid0(SALU_CYCLE_1) | instskip(SKIP_1) | instid1(SALU_CYCLE_1)
	s_cmp_lg_u32 s0, 0
	s_add_co_ci_u32 s45, s45, s49
	s_mul_u64 s[46:47], s[46:47], s[44:45]
	s_delay_alu instid0(SALU_CYCLE_1)
	s_mul_hi_u32 s49, s44, s47
	s_mul_i32 s48, s44, s47
	s_mul_hi_u32 s50, s44, s46
	s_mul_i32 s15, s45, s46
	s_add_nc_u64 s[48:49], s[50:51], s[48:49]
	s_mul_hi_u32 s0, s45, s46
	s_mul_hi_u32 s52, s45, s47
	s_add_co_u32 s15, s48, s15
	s_add_co_ci_u32 s50, s49, s0
	s_mul_i32 s46, s45, s47
	s_add_co_ci_u32 s47, s52, 0
	s_delay_alu instid0(SALU_CYCLE_1) | instskip(NEXT) | instid1(SALU_CYCLE_1)
	s_add_nc_u64 s[46:47], s[50:51], s[46:47]
	s_add_co_u32 s0, s44, s46
	s_cselect_b32 s15, -1, 0
	v_mul_hi_u32 v26, v18, s0
	s_cmp_lg_u32 s15, 0
	s_add_co_ci_u32 s50, s45, s47
	s_mov_b64 s[44:45], 0xffffffff
	v_mul_u64_e32 v[22:23], s[50:51], v[18:19]
	s_and_b64 s[44:45], s[0:1], s[44:45]
	v_mul_u64_e32 v[24:25], s[50:51], v[20:21]
	v_mul_u64_e32 v[16:17], s[44:45], v[20:21]
	s_delay_alu instid0(VALU_DEP_3) | instskip(NEXT) | instid1(VALU_DEP_1)
	v_add_nc_u64_e32 v[22:23], v[26:27], v[22:23]
	v_add_co_u32 v1, vcc_lo, v22, v16
	s_delay_alu instid0(VALU_DEP_2) | instskip(SKIP_1) | instid1(VALU_DEP_1)
	v_add_co_ci_u32_e32 v10, vcc_lo, v23, v17, vcc_lo
	v_add_co_ci_u32_e32 v25, vcc_lo, 0, v25, vcc_lo
	v_add_nc_u64_e32 v[10:11], v[10:11], v[24:25]
	s_delay_alu instid0(VALU_DEP_1) | instskip(NEXT) | instid1(VALU_DEP_1)
	v_mul_u64_e32 v[16:17], s[42:43], v[10:11]
	v_sub_nc_u32_e32 v1, v20, v17
	s_delay_alu instid0(VALU_DEP_2) | instskip(NEXT) | instid1(VALU_DEP_1)
	v_sub_co_u32 v3, vcc_lo, v18, v16
	v_sub_co_ci_u32_e64 v13, null, v20, v17, vcc_lo
	s_delay_alu instid0(VALU_DEP_3) | instskip(NEXT) | instid1(VALU_DEP_3)
	v_subrev_co_ci_u32_e64 v1, null, s43, v1, vcc_lo
	v_sub_co_u32 v5, s0, v3, s42
	v_add_nc_u64_e32 v[16:17], 2, v[10:11]
	s_delay_alu instid0(VALU_DEP_3) | instskip(NEXT) | instid1(VALU_DEP_3)
	v_subrev_co_ci_u32_e64 v1, null, 0, v1, s0
	v_cmp_le_u32_e32 vcc_lo, s42, v5
	v_add_nc_u64_e32 v[18:19], 1, v[10:11]
	v_cndmask_b32_e64 v5, 0, -1, vcc_lo
	s_delay_alu instid0(VALU_DEP_4)
	v_cmp_le_u32_e32 vcc_lo, s43, v1
	v_cndmask_b32_e64 v15, 0, -1, vcc_lo
	v_cmp_le_u32_e32 vcc_lo, s42, v3
	v_cndmask_b32_e64 v3, 0, -1, vcc_lo
	;; [unrolled: 2-line block ×3, first 2 shown]
	v_cmp_eq_u32_e32 vcc_lo, s43, v1
	v_cndmask_b32_e32 v1, v15, v5, vcc_lo
	v_cmp_eq_u32_e32 vcc_lo, s43, v13
	s_delay_alu instid0(VALU_DEP_4) | instskip(NEXT) | instid1(VALU_DEP_3)
	v_cndmask_b32_e32 v3, v20, v3, vcc_lo
	v_cmp_ne_u32_e32 vcc_lo, 0, v1
	s_delay_alu instid0(VALU_DEP_2) | instskip(SKIP_1) | instid1(VALU_DEP_1)
	v_cmp_ne_u32_e64 s0, 0, v3
	v_dual_cndmask_b32 v1, v19, v17, vcc_lo :: v_dual_cndmask_b32 v3, v18, v16, vcc_lo
	v_dual_cndmask_b32 v1, v11, v1, s0 :: v_dual_cndmask_b32 v3, v10, v3, s0
	s_delay_alu instid0(VALU_DEP_1) | instskip(NEXT) | instid1(VALU_DEP_2)
	v_dual_mov_b32 v13, v12 :: v_dual_bitop2_b32 v11, v1, v12 bitop3:0x14
	v_xor_b32_e32 v10, v3, v12
	s_delay_alu instid0(VALU_DEP_1)
	v_sub_nc_u64_e32 v[12:13], v[10:11], v[12:13]
.LBB2_46:
	s_and_not1_saveexec_b32 s0, s1
	s_cbranch_execz .LBB2_48
; %bb.47:
	v_cvt_f32_u32_e32 v1, s12
	s_sub_co_i32 s1, 0, s12
	v_mov_b32_e32 v13, 0
	s_delay_alu instid0(VALU_DEP_2) | instskip(SKIP_1) | instid1(TRANS32_DEP_1)
	v_rcp_iflag_f32_e32 v1, v1
	v_nop
	v_mul_f32_e32 v1, 0x4f7ffffe, v1
	s_delay_alu instid0(VALU_DEP_1) | instskip(NEXT) | instid1(VALU_DEP_1)
	v_cvt_u32_f32_e32 v1, v1
	v_mul_lo_u32 v3, s1, v1
	s_delay_alu instid0(VALU_DEP_1) | instskip(NEXT) | instid1(VALU_DEP_1)
	v_mul_hi_u32 v3, v1, v3
	v_add_nc_u32_e32 v1, v1, v3
	s_delay_alu instid0(VALU_DEP_1) | instskip(NEXT) | instid1(VALU_DEP_1)
	v_mul_hi_u32 v1, v6, v1
	v_mul_lo_u32 v3, v1, s12
	s_delay_alu instid0(VALU_DEP_1) | instskip(NEXT) | instid1(VALU_DEP_1)
	v_sub_nc_u32_e32 v3, v6, v3
	v_subrev_nc_u32_e32 v10, s12, v3
	v_cmp_le_u32_e32 vcc_lo, s12, v3
	s_delay_alu instid0(VALU_DEP_2) | instskip(NEXT) | instid1(VALU_DEP_1)
	v_dual_add_nc_u32 v5, 1, v1 :: v_dual_cndmask_b32 v3, v3, v10, vcc_lo
	v_cndmask_b32_e32 v1, v1, v5, vcc_lo
	s_delay_alu instid0(VALU_DEP_2) | instskip(NEXT) | instid1(VALU_DEP_2)
	v_cmp_le_u32_e32 vcc_lo, s12, v3
	v_add_nc_u32_e32 v5, 1, v1
	s_delay_alu instid0(VALU_DEP_1)
	v_cndmask_b32_e32 v12, v1, v5, vcc_lo
.LBB2_48:
	s_or_b32 exec_lo, exec_lo, s0
	v_mul_u64_e32 v[16:17], s[12:13], v[8:9]
	s_delay_alu instid0(VALU_DEP_2) | instskip(SKIP_2) | instid1(VALU_DEP_2)
	v_min_i64 v[10:11], v[12:13], s[2:3]
	s_mov_b32 s14, 0
	s_mov_b32 s15, exec_lo
	v_add_nc_u64_e32 v[12:13], s[10:11], v[16:17]
	v_cmp_gt_i64_e32 vcc_lo, v[16:17], v[6:7]
	s_delay_alu instid0(VALU_DEP_2) | instskip(SKIP_2) | instid1(SALU_CYCLE_1)
	v_cmp_ge_i64_e64 s0, v[6:7], v[12:13]
	v_mov_b32_e32 v13, s14
	s_or_b32 s0, vcc_lo, s0
	v_cndmask_b32_e64 v12, 0, 1, s0
	s_delay_alu instid0(VALU_DEP_1) | instskip(NEXT) | instid1(VALU_DEP_1)
	v_add_nc_u64_e32 v[8:9], v[8:9], v[12:13]
	v_cmpx_le_i64_e64 v[8:9], v[10:11]
	s_cbranch_execz .LBB2_51
; %bb.49:
	global_load_b32 v1, v2, s[4:5]
	v_mul_u64_e32 v[12:13], s[12:13], v[8:9]
	v_mov_b32_e32 v3, 0
	s_mul_u64 s[0:1], s[12:13], s[18:19]
	s_lshl_b64 s[42:43], s[16:17], 2
	s_lshl_b64 s[0:1], s[0:1], 2
	s_delay_alu instid0(VALU_DEP_1) | instskip(SKIP_3) | instid1(VALU_DEP_4)
	v_mov_b32_e32 v5, v3
	s_wait_xcnt 0x0
	v_add_nc_u64_e32 v[2:3], s[4:5], v[2:3]
	s_sub_nc_u64 s[0:1], s[42:43], s[0:1]
	v_sub_nc_u64_e32 v[6:7], v[6:7], v[12:13]
	v_mul_u64_e32 v[12:13], s[16:17], v[8:9]
	s_delay_alu instid0(VALU_DEP_2) | instskip(NEXT) | instid1(VALU_DEP_2)
	v_mul_u64_e32 v[6:7], s[18:19], v[6:7]
	v_lshlrev_b64_e32 v[12:13], 2, v[12:13]
	s_delay_alu instid0(VALU_DEP_1) | instskip(NEXT) | instid1(VALU_DEP_1)
	v_lshl_add_u64 v[6:7], v[6:7], 2, v[12:13]
	v_add_nc_u64_e32 v[6:7], v[6:7], v[4:5]
	v_add_nc_u64_e32 v[4:5], -1, v[8:9]
	s_delay_alu instid0(VALU_DEP_2)
	v_add_nc_u64_e32 v[6:7], s[6:7], v[6:7]
.LBB2_50:                               ; =>This Inner Loop Header: Depth=1
	global_load_b32 v8, v[6:7], off
	v_add_nc_u64_e32 v[4:5], 1, v[4:5]
	s_wait_xcnt 0x0
	v_add_nc_u64_e32 v[6:7], s[0:1], v[6:7]
	s_delay_alu instid0(VALU_DEP_2)
	v_cmp_ge_i64_e32 vcc_lo, v[4:5], v[10:11]
	s_or_b32 s14, vcc_lo, s14
	s_wait_loadcnt 0x0
	v_add_nc_u32_e32 v1, v8, v1
	global_store_b32 v[2:3], v1, off
	s_wait_xcnt 0x0
	s_and_not1_b32 exec_lo, exec_lo, s14
	s_cbranch_execnz .LBB2_50
.LBB2_51:
	s_or_b32 exec_lo, exec_lo, s15
	v_add_nc_u32_e32 v0, 0x100, v0
	s_or_b32 exec_lo, exec_lo, s29
	s_delay_alu instid0(SALU_CYCLE_1) | instskip(NEXT) | instid1(VALU_DEP_1)
	s_mov_b32 s29, exec_lo
	v_cmpx_gt_i32_e64 s31, v0
	s_cbranch_execz .LBB2_3
.LBB2_52:
	v_cmp_ne_u32_e32 vcc_lo, 1, v14
	s_cbranch_vccnz .LBB2_59
; %bb.53:
	v_dual_mov_b32 v3, 0 :: v_dual_mov_b32 v4, 0
	v_mov_b32_e32 v2, 0
	s_and_not1_b32 vcc_lo, exec_lo, s33
	s_cbranch_vccnz .LBB2_58
; %bb.54:
	v_dual_mov_b32 v2, 0 :: v_dual_mov_b32 v1, v0
	v_dual_mov_b32 v4, 0 :: v_dual_mov_b32 v3, 0
	s_add_co_i32 s14, s22, 1
	s_mov_b64 s[0:1], 0xffffffffffffffe8
	s_and_b32 s14, s14, 30
	s_add_nc_u64 s[0:1], s[40:41], s[0:1]
.LBB2_55:                               ; =>This Inner Loop Header: Depth=1
	s_clause 0x1
	s_load_b128 s[44:47], s[0:1], 0x1c
	s_load_b64 s[42:43], s[0:1], 0x2c
	s_add_co_i32 s14, s14, -2
	s_delay_alu instid0(SALU_CYCLE_1) | instskip(SKIP_2) | instid1(VALU_DEP_1)
	s_cmp_eq_u32 s14, 0
	s_wait_kmcnt 0x0
	v_mul_hi_u32 v5, s45, v1
	v_add_nc_u32_e32 v5, v1, v5
	s_delay_alu instid0(VALU_DEP_1) | instskip(NEXT) | instid1(VALU_DEP_1)
	v_lshrrev_b32_e32 v5, s46, v5
	v_mul_hi_u32 v6, s42, v5
	v_mul_lo_u32 v7, v5, s44
	s_clause 0x1
	s_load_b128 s[48:51], s[0:1], 0xdc
	s_load_b64 s[44:45], s[0:1], 0xec
	s_wait_xcnt 0x0
	s_add_nc_u64 s[0:1], s[0:1], 24
	s_delay_alu instid0(VALU_DEP_2) | instskip(NEXT) | instid1(VALU_DEP_1)
	v_add_nc_u32_e32 v6, v5, v6
	v_dual_sub_nc_u32 v7, v1, v7 :: v_dual_lshrrev_b32 v1, s43, v6
	s_wait_kmcnt 0x0
	s_delay_alu instid0(VALU_DEP_1) | instskip(NEXT) | instid1(VALU_DEP_2)
	v_mad_u32 v2, v7, s48, v2
	v_mul_lo_u32 v6, v1, s47
	v_mad_u32 v3, v7, s50, v3
	v_mad_u32 v4, v7, s49, v4
	s_delay_alu instid0(VALU_DEP_3) | instskip(NEXT) | instid1(VALU_DEP_1)
	v_sub_nc_u32_e32 v5, v5, v6
	v_mad_u32 v2, v5, s51, v2
	s_delay_alu instid0(VALU_DEP_4) | instskip(NEXT) | instid1(VALU_DEP_4)
	v_mad_u32 v3, v5, s45, v3
	v_mad_u32 v4, v5, s44, v4
	s_cbranch_scc0 .LBB2_55
; %bb.56:
	s_bitcmp1_b32 s22, 0
	s_cselect_b32 s14, -1, 0
	s_delay_alu instid0(SALU_CYCLE_1)
	s_and_b32 vcc_lo, exec_lo, s14
	s_cbranch_vccnz .LBB2_58
; %bb.57:
	s_clause 0x1
	s_load_b96 s[44:46], s[0:1], 0x1c
	s_load_b96 s[48:50], s[0:1], 0xdc
	s_wait_kmcnt 0x0
	v_mul_hi_u32 v5, s45, v1
	s_delay_alu instid0(VALU_DEP_1) | instskip(NEXT) | instid1(VALU_DEP_1)
	v_add_nc_u32_e32 v5, v1, v5
	v_lshrrev_b32_e32 v5, s46, v5
	s_delay_alu instid0(VALU_DEP_1) | instskip(NEXT) | instid1(VALU_DEP_1)
	v_mul_lo_u32 v5, v5, s44
	v_sub_nc_u32_e32 v1, v1, v5
	s_delay_alu instid0(VALU_DEP_1)
	v_mad_u32 v2, v1, s48, v2
	v_mad_u32 v4, v1, s49, v4
	;; [unrolled: 1-line block ×3, first 2 shown]
.LBB2_58:
	s_cbranch_execz .LBB2_60
	s_branch .LBB2_62
.LBB2_59:
                                        ; implicit-def: $vgpr3
                                        ; implicit-def: $vgpr4
                                        ; implicit-def: $vgpr2
.LBB2_60:
	v_mov_b32_e32 v1, 0
	s_and_not1_b32 vcc_lo, exec_lo, s20
	s_delay_alu instid0(VALU_DEP_1) | instskip(NEXT) | instid1(VALU_DEP_1)
	v_mul_u64_e32 v[2:3], s[36:37], v[0:1]
	v_add_nc_u32_e32 v2, v0, v3
	s_delay_alu instid0(VALU_DEP_1) | instskip(NEXT) | instid1(VALU_DEP_1)
	v_lshrrev_b32_e32 v6, s23, v2
	v_mul_lo_u32 v2, v6, s21
	s_delay_alu instid0(VALU_DEP_1) | instskip(NEXT) | instid1(VALU_DEP_1)
	v_sub_nc_u32_e32 v4, v0, v2
	v_mul_lo_u32 v2, v4, s24
	v_mul_lo_u32 v3, v4, s26
	;; [unrolled: 1-line block ×3, first 2 shown]
	s_cbranch_vccnz .LBB2_62
; %bb.61:
	v_mov_b32_e32 v7, v1
	s_delay_alu instid0(VALU_DEP_1) | instskip(NEXT) | instid1(VALU_DEP_1)
	v_mul_u64_e32 v[8:9], s[38:39], v[6:7]
	v_add_nc_u32_e32 v1, v6, v9
	s_delay_alu instid0(VALU_DEP_1) | instskip(NEXT) | instid1(VALU_DEP_1)
	v_lshrrev_b32_e32 v1, s30, v1
	v_mul_lo_u32 v1, v1, s28
	s_delay_alu instid0(VALU_DEP_1) | instskip(NEXT) | instid1(VALU_DEP_1)
	v_sub_nc_u32_e32 v1, v6, v1
	v_mad_u32 v2, v1, s27, v2
	v_mad_u32 v4, v1, s34, v4
	;; [unrolled: 1-line block ×3, first 2 shown]
.LBB2_62:
	global_load_b64 v[6:7], v3, s[8:9]
	v_mov_b64_e32 v[8:9], 0
	s_mov_b32 s1, exec_lo
	s_wait_loadcnt 0x0
	v_cmpx_lt_i64_e64 s[10:11], v[6:7]
	s_cbranch_execz .LBB2_68
; %bb.63:
	v_sub_nc_u64_e64 v[12:13], v[6:7], s[10:11]
                                        ; implicit-def: $vgpr8_vgpr9
	s_mov_b32 s0, exec_lo
	s_delay_alu instid0(VALU_DEP_1) | instskip(NEXT) | instid1(VALU_DEP_1)
	v_dual_mov_b32 v10, 0 :: v_dual_bitop2_b32 v11, s13, v13 bitop3:0x54
	v_cmpx_ne_u64_e32 0, v[10:11]
	s_xor_b32 s44, exec_lo, s0
	s_cbranch_execz .LBB2_65
; %bb.64:
	s_ashr_i32 s14, s13, 31
	s_mov_b32 s53, 0
	s_mov_b32 s15, s14
	v_dual_mov_b32 v17, v10 :: v_dual_ashrrev_i32 v8, 31, v13
	s_add_nc_u64 s[42:43], s[12:13], s[14:15]
	v_mov_b32_e32 v19, v10
	s_xor_b64 s[42:43], s[42:43], s[14:15]
	s_delay_alu instid0(VALU_DEP_2)
	v_mov_b32_e32 v9, v8
	s_cvt_f32_u32 s0, s42
	s_cvt_f32_u32 s15, s43
	s_sub_nc_u64 s[48:49], 0, s[42:43]
	v_mov_b32_e32 v25, v10
	v_add_nc_u64_e32 v[12:13], v[12:13], v[8:9]
	s_fmamk_f32 s0, s15, 0x4f800000, s0
	v_mov_b32_e32 v11, v10
	s_delay_alu instid0(SALU_CYCLE_2) | instskip(NEXT) | instid1(VALU_DEP_2)
	v_s_rcp_f32 s0, s0
	v_xor_b32_e32 v16, v12, v8
	s_delay_alu instid0(VALU_DEP_3) | instskip(SKIP_1) | instid1(TRANS32_DEP_1)
	v_xor_b32_e32 v18, v13, v8
	v_xor_b32_e32 v8, s14, v8
	s_mul_f32 s0, s0, 0x5f7ffffc
	s_delay_alu instid0(SALU_CYCLE_3) | instskip(NEXT) | instid1(SALU_CYCLE_3)
	s_mul_f32 s15, s0, 0x2f800000
	s_trunc_f32 s15, s15
	s_delay_alu instid0(SALU_CYCLE_3) | instskip(SKIP_1) | instid1(SALU_CYCLE_2)
	s_fmamk_f32 s0, s15, 0xcf800000, s0
	s_cvt_u32_f32 s47, s15
	s_cvt_u32_f32 s46, s0
	s_delay_alu instid0(SALU_CYCLE_3) | instskip(NEXT) | instid1(SALU_CYCLE_1)
	s_mul_u64 s[50:51], s[48:49], s[46:47]
	s_mul_hi_u32 s55, s46, s51
	s_mul_i32 s54, s46, s51
	s_mul_hi_u32 s52, s46, s50
	s_mul_i32 s15, s47, s50
	s_add_nc_u64 s[54:55], s[52:53], s[54:55]
	s_mul_hi_u32 s0, s47, s50
	s_mul_hi_u32 s45, s47, s51
	s_add_co_u32 s15, s54, s15
	s_add_co_ci_u32 s52, s55, s0
	s_mul_i32 s50, s47, s51
	s_add_co_ci_u32 s51, s45, 0
	s_delay_alu instid0(SALU_CYCLE_1) | instskip(NEXT) | instid1(SALU_CYCLE_1)
	s_add_nc_u64 s[50:51], s[52:53], s[50:51]
	s_add_co_u32 s46, s46, s50
	s_cselect_b32 s0, -1, 0
	s_delay_alu instid0(SALU_CYCLE_1) | instskip(SKIP_1) | instid1(SALU_CYCLE_1)
	s_cmp_lg_u32 s0, 0
	s_add_co_ci_u32 s47, s47, s51
	s_mul_u64 s[48:49], s[48:49], s[46:47]
	s_delay_alu instid0(SALU_CYCLE_1)
	s_mul_hi_u32 s51, s46, s49
	s_mul_i32 s50, s46, s49
	s_mul_hi_u32 s52, s46, s48
	s_mul_i32 s15, s47, s48
	s_add_nc_u64 s[50:51], s[52:53], s[50:51]
	s_mul_hi_u32 s0, s47, s48
	s_mul_hi_u32 s45, s47, s49
	s_add_co_u32 s15, s50, s15
	s_add_co_ci_u32 s52, s51, s0
	s_mul_i32 s48, s47, s49
	s_add_co_ci_u32 s49, s45, 0
	s_delay_alu instid0(SALU_CYCLE_1) | instskip(NEXT) | instid1(SALU_CYCLE_1)
	s_add_nc_u64 s[48:49], s[52:53], s[48:49]
	s_add_co_u32 s0, s46, s48
	s_cselect_b32 s15, -1, 0
	v_mul_hi_u32 v24, v16, s0
	s_cmp_lg_u32 s15, 0
	s_add_co_ci_u32 s52, s47, s49
	s_mov_b64 s[46:47], 0xffffffff
	v_mul_u64_e32 v[20:21], s[52:53], v[16:17]
	s_and_b64 s[46:47], s[0:1], s[46:47]
	v_mul_u64_e32 v[22:23], s[52:53], v[18:19]
	v_mul_u64_e32 v[12:13], s[46:47], v[18:19]
	s_delay_alu instid0(VALU_DEP_3) | instskip(NEXT) | instid1(VALU_DEP_1)
	v_add_nc_u64_e32 v[20:21], v[24:25], v[20:21]
	v_add_co_u32 v1, vcc_lo, v20, v12
	s_delay_alu instid0(VALU_DEP_2) | instskip(SKIP_1) | instid1(VALU_DEP_1)
	v_add_co_ci_u32_e32 v10, vcc_lo, v21, v13, vcc_lo
	v_add_co_ci_u32_e32 v23, vcc_lo, 0, v23, vcc_lo
	v_add_nc_u64_e32 v[10:11], v[10:11], v[22:23]
	s_delay_alu instid0(VALU_DEP_1) | instskip(NEXT) | instid1(VALU_DEP_1)
	v_mul_u64_e32 v[12:13], s[42:43], v[10:11]
	v_sub_nc_u32_e32 v1, v18, v13
	s_delay_alu instid0(VALU_DEP_2) | instskip(NEXT) | instid1(VALU_DEP_1)
	v_sub_co_u32 v3, vcc_lo, v16, v12
	v_sub_co_ci_u32_e64 v9, null, v18, v13, vcc_lo
	s_delay_alu instid0(VALU_DEP_3) | instskip(NEXT) | instid1(VALU_DEP_3)
	v_subrev_co_ci_u32_e64 v1, null, s43, v1, vcc_lo
	v_sub_co_u32 v5, s0, v3, s42
	v_add_nc_u64_e32 v[16:17], 1, v[10:11]
	s_delay_alu instid0(VALU_DEP_3) | instskip(NEXT) | instid1(VALU_DEP_3)
	v_subrev_co_ci_u32_e64 v1, null, 0, v1, s0
	v_cmp_le_u32_e32 vcc_lo, s42, v5
	v_cndmask_b32_e64 v5, 0, -1, vcc_lo
	s_delay_alu instid0(VALU_DEP_3)
	v_cmp_le_u32_e32 vcc_lo, s43, v1
	v_cndmask_b32_e64 v12, 0, -1, vcc_lo
	v_cmp_le_u32_e32 vcc_lo, s42, v3
	v_cndmask_b32_e64 v3, 0, -1, vcc_lo
	;; [unrolled: 2-line block ×3, first 2 shown]
	v_cmp_eq_u32_e32 vcc_lo, s43, v1
	v_cndmask_b32_e32 v1, v12, v5, vcc_lo
	v_cmp_eq_u32_e32 vcc_lo, s43, v9
	v_add_nc_u64_e32 v[12:13], 2, v[10:11]
	v_cndmask_b32_e32 v3, v15, v3, vcc_lo
	s_delay_alu instid0(VALU_DEP_4) | instskip(NEXT) | instid1(VALU_DEP_2)
	v_cmp_ne_u32_e32 vcc_lo, 0, v1
	v_cmp_ne_u32_e64 s0, 0, v3
	s_delay_alu instid0(VALU_DEP_4) | instskip(NEXT) | instid1(VALU_DEP_1)
	v_dual_cndmask_b32 v1, v17, v13, vcc_lo :: v_dual_cndmask_b32 v3, v16, v12, vcc_lo
                                        ; implicit-def: $vgpr12_vgpr13
	v_dual_cndmask_b32 v1, v11, v1, s0 :: v_dual_cndmask_b32 v3, v10, v3, s0
	s_delay_alu instid0(VALU_DEP_1) | instskip(NEXT) | instid1(VALU_DEP_2)
	v_dual_mov_b32 v9, v8 :: v_dual_bitop2_b32 v11, v1, v8 bitop3:0x14
	v_xor_b32_e32 v10, v3, v8
	s_delay_alu instid0(VALU_DEP_1)
	v_sub_nc_u64_e32 v[8:9], v[10:11], v[8:9]
.LBB2_65:
	s_and_not1_saveexec_b32 s0, s44
	s_cbranch_execz .LBB2_67
; %bb.66:
	v_cvt_f32_u32_e32 v1, s12
	s_sub_co_i32 s14, 0, s12
	v_mov_b32_e32 v9, 0
	s_delay_alu instid0(VALU_DEP_2) | instskip(SKIP_1) | instid1(TRANS32_DEP_1)
	v_rcp_iflag_f32_e32 v1, v1
	v_nop
	v_mul_f32_e32 v1, 0x4f7ffffe, v1
	s_delay_alu instid0(VALU_DEP_1) | instskip(NEXT) | instid1(VALU_DEP_1)
	v_cvt_u32_f32_e32 v1, v1
	v_mul_lo_u32 v3, s14, v1
	s_delay_alu instid0(VALU_DEP_1) | instskip(NEXT) | instid1(VALU_DEP_1)
	v_mul_hi_u32 v3, v1, v3
	v_add_nc_u32_e32 v1, v1, v3
	s_delay_alu instid0(VALU_DEP_1) | instskip(NEXT) | instid1(VALU_DEP_1)
	v_mul_hi_u32 v1, v12, v1
	v_mul_lo_u32 v3, v1, s12
	s_delay_alu instid0(VALU_DEP_1) | instskip(NEXT) | instid1(VALU_DEP_1)
	v_sub_nc_u32_e32 v3, v12, v3
	v_subrev_nc_u32_e32 v8, s12, v3
	v_cmp_le_u32_e32 vcc_lo, s12, v3
	s_delay_alu instid0(VALU_DEP_2) | instskip(NEXT) | instid1(VALU_DEP_1)
	v_dual_add_nc_u32 v5, 1, v1 :: v_dual_cndmask_b32 v3, v3, v8, vcc_lo
	v_cndmask_b32_e32 v1, v1, v5, vcc_lo
	s_delay_alu instid0(VALU_DEP_2) | instskip(NEXT) | instid1(VALU_DEP_2)
	v_cmp_le_u32_e32 vcc_lo, s12, v3
	v_add_nc_u32_e32 v5, 1, v1
	s_delay_alu instid0(VALU_DEP_1)
	v_cndmask_b32_e32 v8, v1, v5, vcc_lo
.LBB2_67:
	s_or_b32 exec_lo, exec_lo, s0
.LBB2_68:
	s_delay_alu instid0(SALU_CYCLE_1) | instskip(SKIP_2) | instid1(VALU_DEP_1)
	s_or_b32 exec_lo, exec_lo, s1
	v_dual_mov_b32 v10, 0 :: v_dual_bitop2_b32 v11, s13, v7 bitop3:0x54
                                        ; implicit-def: $vgpr12_vgpr13
	s_mov_b32 s0, exec_lo
	v_cmpx_ne_u64_e32 0, v[10:11]
	s_xor_b32 s1, exec_lo, s0
	s_cbranch_execz .LBB2_70
; %bb.69:
	s_ashr_i32 s14, s13, 31
	s_mov_b32 s51, 0
	s_mov_b32 s15, s14
	v_dual_mov_b32 v19, v10 :: v_dual_ashrrev_i32 v12, 31, v7
	s_add_nc_u64 s[42:43], s[12:13], s[14:15]
	v_mov_b32_e32 v21, v10
	s_xor_b64 s[42:43], s[42:43], s[14:15]
	s_delay_alu instid0(VALU_DEP_2)
	v_mov_b32_e32 v13, v12
	s_cvt_f32_u32 s0, s42
	s_cvt_f32_u32 s15, s43
	s_sub_nc_u64 s[46:47], 0, s[42:43]
	v_mov_b32_e32 v27, v10
	v_add_nc_u64_e32 v[16:17], v[6:7], v[12:13]
	s_fmamk_f32 s0, s15, 0x4f800000, s0
	v_mov_b32_e32 v11, v10
	s_delay_alu instid0(SALU_CYCLE_2) | instskip(NEXT) | instid1(VALU_DEP_2)
	v_s_rcp_f32 s0, s0
	v_xor_b32_e32 v18, v16, v12
	s_delay_alu instid0(VALU_DEP_3) | instskip(SKIP_1) | instid1(TRANS32_DEP_1)
	v_xor_b32_e32 v20, v17, v12
	v_xor_b32_e32 v12, s14, v12
	s_mul_f32 s0, s0, 0x5f7ffffc
	s_delay_alu instid0(SALU_CYCLE_3) | instskip(NEXT) | instid1(SALU_CYCLE_3)
	s_mul_f32 s15, s0, 0x2f800000
	s_trunc_f32 s15, s15
	s_delay_alu instid0(SALU_CYCLE_3) | instskip(SKIP_1) | instid1(SALU_CYCLE_2)
	s_fmamk_f32 s0, s15, 0xcf800000, s0
	s_cvt_u32_f32 s45, s15
	s_cvt_u32_f32 s44, s0
	s_delay_alu instid0(SALU_CYCLE_3) | instskip(NEXT) | instid1(SALU_CYCLE_1)
	s_mul_u64 s[48:49], s[46:47], s[44:45]
	s_mul_hi_u32 s53, s44, s49
	s_mul_i32 s52, s44, s49
	s_mul_hi_u32 s50, s44, s48
	s_mul_i32 s15, s45, s48
	s_add_nc_u64 s[52:53], s[50:51], s[52:53]
	s_mul_hi_u32 s0, s45, s48
	s_mul_hi_u32 s54, s45, s49
	s_add_co_u32 s15, s52, s15
	s_add_co_ci_u32 s50, s53, s0
	s_mul_i32 s48, s45, s49
	s_add_co_ci_u32 s49, s54, 0
	s_delay_alu instid0(SALU_CYCLE_1) | instskip(NEXT) | instid1(SALU_CYCLE_1)
	s_add_nc_u64 s[48:49], s[50:51], s[48:49]
	s_add_co_u32 s44, s44, s48
	s_cselect_b32 s0, -1, 0
	s_delay_alu instid0(SALU_CYCLE_1) | instskip(SKIP_1) | instid1(SALU_CYCLE_1)
	s_cmp_lg_u32 s0, 0
	s_add_co_ci_u32 s45, s45, s49
	s_mul_u64 s[46:47], s[46:47], s[44:45]
	s_delay_alu instid0(SALU_CYCLE_1)
	s_mul_hi_u32 s49, s44, s47
	s_mul_i32 s48, s44, s47
	s_mul_hi_u32 s50, s44, s46
	s_mul_i32 s15, s45, s46
	s_add_nc_u64 s[48:49], s[50:51], s[48:49]
	s_mul_hi_u32 s0, s45, s46
	s_mul_hi_u32 s52, s45, s47
	s_add_co_u32 s15, s48, s15
	s_add_co_ci_u32 s50, s49, s0
	s_mul_i32 s46, s45, s47
	s_add_co_ci_u32 s47, s52, 0
	s_delay_alu instid0(SALU_CYCLE_1) | instskip(NEXT) | instid1(SALU_CYCLE_1)
	s_add_nc_u64 s[46:47], s[50:51], s[46:47]
	s_add_co_u32 s0, s44, s46
	s_cselect_b32 s15, -1, 0
	v_mul_hi_u32 v26, v18, s0
	s_cmp_lg_u32 s15, 0
	s_add_co_ci_u32 s50, s45, s47
	s_mov_b64 s[44:45], 0xffffffff
	v_mul_u64_e32 v[22:23], s[50:51], v[18:19]
	s_and_b64 s[44:45], s[0:1], s[44:45]
	v_mul_u64_e32 v[24:25], s[50:51], v[20:21]
	v_mul_u64_e32 v[16:17], s[44:45], v[20:21]
	s_delay_alu instid0(VALU_DEP_3) | instskip(NEXT) | instid1(VALU_DEP_1)
	v_add_nc_u64_e32 v[22:23], v[26:27], v[22:23]
	v_add_co_u32 v1, vcc_lo, v22, v16
	s_delay_alu instid0(VALU_DEP_2) | instskip(SKIP_1) | instid1(VALU_DEP_1)
	v_add_co_ci_u32_e32 v10, vcc_lo, v23, v17, vcc_lo
	v_add_co_ci_u32_e32 v25, vcc_lo, 0, v25, vcc_lo
	v_add_nc_u64_e32 v[10:11], v[10:11], v[24:25]
	s_delay_alu instid0(VALU_DEP_1) | instskip(NEXT) | instid1(VALU_DEP_1)
	v_mul_u64_e32 v[16:17], s[42:43], v[10:11]
	v_sub_nc_u32_e32 v1, v20, v17
	s_delay_alu instid0(VALU_DEP_2) | instskip(NEXT) | instid1(VALU_DEP_1)
	v_sub_co_u32 v3, vcc_lo, v18, v16
	v_sub_co_ci_u32_e64 v13, null, v20, v17, vcc_lo
	s_delay_alu instid0(VALU_DEP_3) | instskip(NEXT) | instid1(VALU_DEP_3)
	v_subrev_co_ci_u32_e64 v1, null, s43, v1, vcc_lo
	v_sub_co_u32 v5, s0, v3, s42
	v_add_nc_u64_e32 v[16:17], 2, v[10:11]
	s_delay_alu instid0(VALU_DEP_3) | instskip(NEXT) | instid1(VALU_DEP_3)
	v_subrev_co_ci_u32_e64 v1, null, 0, v1, s0
	v_cmp_le_u32_e32 vcc_lo, s42, v5
	v_add_nc_u64_e32 v[18:19], 1, v[10:11]
	v_cndmask_b32_e64 v5, 0, -1, vcc_lo
	s_delay_alu instid0(VALU_DEP_4)
	v_cmp_le_u32_e32 vcc_lo, s43, v1
	v_cndmask_b32_e64 v15, 0, -1, vcc_lo
	v_cmp_le_u32_e32 vcc_lo, s42, v3
	v_cndmask_b32_e64 v3, 0, -1, vcc_lo
	;; [unrolled: 2-line block ×3, first 2 shown]
	v_cmp_eq_u32_e32 vcc_lo, s43, v1
	v_cndmask_b32_e32 v1, v15, v5, vcc_lo
	v_cmp_eq_u32_e32 vcc_lo, s43, v13
	s_delay_alu instid0(VALU_DEP_4) | instskip(NEXT) | instid1(VALU_DEP_3)
	v_cndmask_b32_e32 v3, v20, v3, vcc_lo
	v_cmp_ne_u32_e32 vcc_lo, 0, v1
	s_delay_alu instid0(VALU_DEP_2) | instskip(SKIP_1) | instid1(VALU_DEP_1)
	v_cmp_ne_u32_e64 s0, 0, v3
	v_dual_cndmask_b32 v1, v19, v17, vcc_lo :: v_dual_cndmask_b32 v3, v18, v16, vcc_lo
	v_dual_cndmask_b32 v1, v11, v1, s0 :: v_dual_cndmask_b32 v3, v10, v3, s0
	s_delay_alu instid0(VALU_DEP_1) | instskip(NEXT) | instid1(VALU_DEP_2)
	v_dual_mov_b32 v13, v12 :: v_dual_bitop2_b32 v11, v1, v12 bitop3:0x14
	v_xor_b32_e32 v10, v3, v12
	s_delay_alu instid0(VALU_DEP_1)
	v_sub_nc_u64_e32 v[12:13], v[10:11], v[12:13]
.LBB2_70:
	s_and_not1_saveexec_b32 s0, s1
	s_cbranch_execz .LBB2_72
; %bb.71:
	v_cvt_f32_u32_e32 v1, s12
	s_sub_co_i32 s1, 0, s12
	v_mov_b32_e32 v13, 0
	s_delay_alu instid0(VALU_DEP_2) | instskip(SKIP_1) | instid1(TRANS32_DEP_1)
	v_rcp_iflag_f32_e32 v1, v1
	v_nop
	v_mul_f32_e32 v1, 0x4f7ffffe, v1
	s_delay_alu instid0(VALU_DEP_1) | instskip(NEXT) | instid1(VALU_DEP_1)
	v_cvt_u32_f32_e32 v1, v1
	v_mul_lo_u32 v3, s1, v1
	s_delay_alu instid0(VALU_DEP_1) | instskip(NEXT) | instid1(VALU_DEP_1)
	v_mul_hi_u32 v3, v1, v3
	v_add_nc_u32_e32 v1, v1, v3
	s_delay_alu instid0(VALU_DEP_1) | instskip(NEXT) | instid1(VALU_DEP_1)
	v_mul_hi_u32 v1, v6, v1
	v_mul_lo_u32 v3, v1, s12
	s_delay_alu instid0(VALU_DEP_1) | instskip(NEXT) | instid1(VALU_DEP_1)
	v_sub_nc_u32_e32 v3, v6, v3
	v_subrev_nc_u32_e32 v10, s12, v3
	v_cmp_le_u32_e32 vcc_lo, s12, v3
	s_delay_alu instid0(VALU_DEP_2) | instskip(NEXT) | instid1(VALU_DEP_1)
	v_dual_add_nc_u32 v5, 1, v1 :: v_dual_cndmask_b32 v3, v3, v10, vcc_lo
	v_cndmask_b32_e32 v1, v1, v5, vcc_lo
	s_delay_alu instid0(VALU_DEP_2) | instskip(NEXT) | instid1(VALU_DEP_2)
	v_cmp_le_u32_e32 vcc_lo, s12, v3
	v_add_nc_u32_e32 v5, 1, v1
	s_delay_alu instid0(VALU_DEP_1)
	v_cndmask_b32_e32 v12, v1, v5, vcc_lo
.LBB2_72:
	s_or_b32 exec_lo, exec_lo, s0
	v_mul_u64_e32 v[16:17], s[12:13], v[8:9]
	s_delay_alu instid0(VALU_DEP_2) | instskip(SKIP_2) | instid1(VALU_DEP_2)
	v_min_i64 v[10:11], v[12:13], s[2:3]
	s_mov_b32 s14, 0
	s_mov_b32 s15, exec_lo
	v_add_nc_u64_e32 v[12:13], s[10:11], v[16:17]
	v_cmp_gt_i64_e32 vcc_lo, v[16:17], v[6:7]
	s_delay_alu instid0(VALU_DEP_2) | instskip(SKIP_2) | instid1(SALU_CYCLE_1)
	v_cmp_ge_i64_e64 s0, v[6:7], v[12:13]
	v_mov_b32_e32 v13, s14
	s_or_b32 s0, vcc_lo, s0
	v_cndmask_b32_e64 v12, 0, 1, s0
	s_delay_alu instid0(VALU_DEP_1) | instskip(NEXT) | instid1(VALU_DEP_1)
	v_add_nc_u64_e32 v[8:9], v[8:9], v[12:13]
	v_cmpx_le_i64_e64 v[8:9], v[10:11]
	s_cbranch_execz .LBB2_75
; %bb.73:
	global_load_b32 v1, v2, s[4:5]
	v_mul_u64_e32 v[12:13], s[12:13], v[8:9]
	v_mov_b32_e32 v3, 0
	s_mul_u64 s[0:1], s[12:13], s[18:19]
	s_lshl_b64 s[42:43], s[16:17], 2
	s_lshl_b64 s[0:1], s[0:1], 2
	s_delay_alu instid0(VALU_DEP_1) | instskip(SKIP_3) | instid1(VALU_DEP_4)
	v_mov_b32_e32 v5, v3
	s_wait_xcnt 0x0
	v_add_nc_u64_e32 v[2:3], s[4:5], v[2:3]
	s_sub_nc_u64 s[0:1], s[42:43], s[0:1]
	v_sub_nc_u64_e32 v[6:7], v[6:7], v[12:13]
	v_mul_u64_e32 v[12:13], s[16:17], v[8:9]
	s_delay_alu instid0(VALU_DEP_2) | instskip(NEXT) | instid1(VALU_DEP_2)
	v_mul_u64_e32 v[6:7], s[18:19], v[6:7]
	v_lshlrev_b64_e32 v[12:13], 2, v[12:13]
	s_delay_alu instid0(VALU_DEP_1) | instskip(NEXT) | instid1(VALU_DEP_1)
	v_lshl_add_u64 v[6:7], v[6:7], 2, v[12:13]
	v_add_nc_u64_e32 v[6:7], v[6:7], v[4:5]
	v_add_nc_u64_e32 v[4:5], -1, v[8:9]
	s_delay_alu instid0(VALU_DEP_2)
	v_add_nc_u64_e32 v[6:7], s[6:7], v[6:7]
.LBB2_74:                               ; =>This Inner Loop Header: Depth=1
	global_load_b32 v8, v[6:7], off
	v_add_nc_u64_e32 v[4:5], 1, v[4:5]
	s_wait_xcnt 0x0
	v_add_nc_u64_e32 v[6:7], s[0:1], v[6:7]
	s_delay_alu instid0(VALU_DEP_2)
	v_cmp_ge_i64_e32 vcc_lo, v[4:5], v[10:11]
	s_or_b32 s14, vcc_lo, s14
	s_wait_loadcnt 0x0
	v_add_nc_u32_e32 v1, v8, v1
	global_store_b32 v[2:3], v1, off
	s_wait_xcnt 0x0
	s_and_not1_b32 exec_lo, exec_lo, s14
	s_cbranch_execnz .LBB2_74
.LBB2_75:
	s_or_b32 exec_lo, exec_lo, s15
	v_add_nc_u32_e32 v0, 0x100, v0
	s_or_b32 exec_lo, exec_lo, s29
	s_delay_alu instid0(SALU_CYCLE_1) | instskip(NEXT) | instid1(VALU_DEP_1)
	s_mov_b32 s0, exec_lo
	v_cmpx_gt_i32_e64 s31, v0
	s_cbranch_execz .LBB2_99
.LBB2_76:
	v_cmp_ne_u32_e32 vcc_lo, 1, v14
	s_cbranch_vccnz .LBB2_83
; %bb.77:
	v_dual_mov_b32 v3, 0 :: v_dual_mov_b32 v4, 0
	v_mov_b32_e32 v2, 0
	s_and_not1_b32 vcc_lo, exec_lo, s33
	s_cbranch_vccnz .LBB2_82
; %bb.78:
	v_dual_mov_b32 v2, 0 :: v_dual_mov_b32 v1, v0
	v_dual_mov_b32 v4, 0 :: v_dual_mov_b32 v3, 0
	s_add_co_i32 s14, s22, 1
	s_mov_b64 s[0:1], 0xffffffffffffffe8
	s_and_b32 s14, s14, 30
	s_add_nc_u64 s[0:1], s[40:41], s[0:1]
.LBB2_79:                               ; =>This Inner Loop Header: Depth=1
	s_clause 0x1
	s_load_b128 s[40:43], s[0:1], 0x1c
	s_load_b64 s[48:49], s[0:1], 0x2c
	s_add_co_i32 s14, s14, -2
	s_delay_alu instid0(SALU_CYCLE_1) | instskip(SKIP_2) | instid1(VALU_DEP_1)
	s_cmp_eq_u32 s14, 0
	s_wait_kmcnt 0x0
	v_mul_hi_u32 v5, s41, v1
	v_add_nc_u32_e32 v5, v1, v5
	s_delay_alu instid0(VALU_DEP_1) | instskip(NEXT) | instid1(VALU_DEP_1)
	v_lshrrev_b32_e32 v5, s42, v5
	v_mul_hi_u32 v6, s48, v5
	v_mul_lo_u32 v7, v5, s40
	s_clause 0x1
	s_load_b128 s[44:47], s[0:1], 0xdc
	s_load_b64 s[40:41], s[0:1], 0xec
	s_wait_xcnt 0x0
	s_add_nc_u64 s[0:1], s[0:1], 24
	s_delay_alu instid0(VALU_DEP_2) | instskip(NEXT) | instid1(VALU_DEP_1)
	v_add_nc_u32_e32 v6, v5, v6
	v_dual_sub_nc_u32 v7, v1, v7 :: v_dual_lshrrev_b32 v1, s49, v6
	s_wait_kmcnt 0x0
	s_delay_alu instid0(VALU_DEP_1) | instskip(NEXT) | instid1(VALU_DEP_2)
	v_mad_u32 v2, v7, s44, v2
	v_mul_lo_u32 v6, v1, s43
	v_mad_u32 v3, v7, s46, v3
	v_mad_u32 v4, v7, s45, v4
	s_delay_alu instid0(VALU_DEP_3) | instskip(NEXT) | instid1(VALU_DEP_1)
	v_sub_nc_u32_e32 v5, v5, v6
	v_mad_u32 v2, v5, s47, v2
	s_delay_alu instid0(VALU_DEP_4) | instskip(NEXT) | instid1(VALU_DEP_4)
	v_mad_u32 v3, v5, s41, v3
	v_mad_u32 v4, v5, s40, v4
	s_cbranch_scc0 .LBB2_79
; %bb.80:
	s_bitcmp1_b32 s22, 0
	s_cselect_b32 s14, -1, 0
	s_delay_alu instid0(SALU_CYCLE_1)
	s_and_b32 vcc_lo, exec_lo, s14
	s_cbranch_vccnz .LBB2_82
; %bb.81:
	s_clause 0x1
	s_load_b96 s[40:42], s[0:1], 0x1c
	s_load_b96 s[44:46], s[0:1], 0xdc
	s_wait_kmcnt 0x0
	v_mul_hi_u32 v5, s41, v1
	s_delay_alu instid0(VALU_DEP_1) | instskip(NEXT) | instid1(VALU_DEP_1)
	v_add_nc_u32_e32 v5, v1, v5
	v_lshrrev_b32_e32 v5, s42, v5
	s_delay_alu instid0(VALU_DEP_1) | instskip(NEXT) | instid1(VALU_DEP_1)
	v_mul_lo_u32 v5, v5, s40
	v_sub_nc_u32_e32 v1, v1, v5
	s_delay_alu instid0(VALU_DEP_1)
	v_mad_u32 v2, v1, s44, v2
	v_mad_u32 v4, v1, s45, v4
	;; [unrolled: 1-line block ×3, first 2 shown]
.LBB2_82:
	s_cbranch_execz .LBB2_84
	s_branch .LBB2_86
.LBB2_83:
                                        ; implicit-def: $vgpr3
                                        ; implicit-def: $vgpr4
                                        ; implicit-def: $vgpr2
.LBB2_84:
	v_mov_b32_e32 v1, 0
	s_and_not1_b32 vcc_lo, exec_lo, s20
	s_delay_alu instid0(VALU_DEP_1) | instskip(NEXT) | instid1(VALU_DEP_1)
	v_mul_u64_e32 v[2:3], s[36:37], v[0:1]
	v_add_nc_u32_e32 v2, v0, v3
	s_delay_alu instid0(VALU_DEP_1) | instskip(NEXT) | instid1(VALU_DEP_1)
	v_lshrrev_b32_e32 v6, s23, v2
	v_mul_lo_u32 v2, v6, s21
	s_delay_alu instid0(VALU_DEP_1) | instskip(NEXT) | instid1(VALU_DEP_1)
	v_sub_nc_u32_e32 v0, v0, v2
	v_mul_lo_u32 v2, v0, s24
	v_mul_lo_u32 v3, v0, s26
	;; [unrolled: 1-line block ×3, first 2 shown]
	s_cbranch_vccnz .LBB2_86
; %bb.85:
	v_mov_b32_e32 v7, v1
	s_delay_alu instid0(VALU_DEP_1) | instskip(NEXT) | instid1(VALU_DEP_1)
	v_mul_u64_e32 v[0:1], s[38:39], v[6:7]
	v_add_nc_u32_e32 v0, v6, v1
	s_delay_alu instid0(VALU_DEP_1) | instskip(NEXT) | instid1(VALU_DEP_1)
	v_lshrrev_b32_e32 v0, s30, v0
	v_mul_lo_u32 v0, v0, s28
	s_delay_alu instid0(VALU_DEP_1) | instskip(NEXT) | instid1(VALU_DEP_1)
	v_sub_nc_u32_e32 v0, v6, v0
	v_mad_u32 v2, v0, s27, v2
	v_mad_u32 v4, v0, s34, v4
	;; [unrolled: 1-line block ×3, first 2 shown]
.LBB2_86:
	global_load_b64 v[0:1], v3, s[8:9]
	v_mov_b64_e32 v[6:7], 0
	s_mov_b32 s1, exec_lo
	s_wait_loadcnt 0x0
	v_cmpx_lt_i64_e64 s[10:11], v[0:1]
	s_cbranch_execz .LBB2_92
; %bb.87:
	v_sub_nc_u64_e64 v[10:11], v[0:1], s[10:11]
                                        ; implicit-def: $vgpr6_vgpr7
	s_mov_b32 s0, exec_lo
	s_delay_alu instid0(VALU_DEP_1) | instskip(NEXT) | instid1(VALU_DEP_1)
	v_dual_mov_b32 v8, 0 :: v_dual_bitop2_b32 v9, s13, v11 bitop3:0x54
	v_cmpx_ne_u64_e32 0, v[8:9]
	s_xor_b32 s20, exec_lo, s0
	s_cbranch_execz .LBB2_89
; %bb.88:
	s_ashr_i32 s8, s13, 31
	s_mov_b32 s29, 0
	s_mov_b32 s9, s8
	v_dual_mov_b32 v13, v8 :: v_dual_ashrrev_i32 v6, 31, v11
	s_add_nc_u64 s[14:15], s[12:13], s[8:9]
	v_mov_b32_e32 v15, v8
	s_xor_b64 s[14:15], s[14:15], s[8:9]
	s_delay_alu instid0(VALU_DEP_2)
	v_mov_b32_e32 v7, v6
	s_cvt_f32_u32 s0, s14
	s_cvt_f32_u32 s9, s15
	s_sub_nc_u64 s[24:25], 0, s[14:15]
	v_mov_b32_e32 v21, v8
	v_add_nc_u64_e32 v[10:11], v[10:11], v[6:7]
	s_fmamk_f32 s0, s9, 0x4f800000, s0
	v_mov_b32_e32 v9, v8
	s_delay_alu instid0(SALU_CYCLE_2) | instskip(NEXT) | instid1(VALU_DEP_2)
	v_s_rcp_f32 s0, s0
	v_xor_b32_e32 v12, v10, v6
	s_delay_alu instid0(VALU_DEP_3) | instskip(SKIP_1) | instid1(TRANS32_DEP_1)
	v_xor_b32_e32 v14, v11, v6
	v_xor_b32_e32 v6, s8, v6
	s_mul_f32 s0, s0, 0x5f7ffffc
	s_delay_alu instid0(SALU_CYCLE_3) | instskip(NEXT) | instid1(SALU_CYCLE_3)
	s_mul_f32 s9, s0, 0x2f800000
	s_trunc_f32 s9, s9
	s_delay_alu instid0(SALU_CYCLE_3) | instskip(SKIP_1) | instid1(SALU_CYCLE_2)
	s_fmamk_f32 s0, s9, 0xcf800000, s0
	s_cvt_u32_f32 s23, s9
	s_cvt_u32_f32 s22, s0
	s_delay_alu instid0(SALU_CYCLE_3) | instskip(NEXT) | instid1(SALU_CYCLE_1)
	s_mul_u64 s[26:27], s[24:25], s[22:23]
	s_mul_hi_u32 s31, s22, s27
	s_mul_i32 s30, s22, s27
	s_mul_hi_u32 s28, s22, s26
	s_mul_i32 s9, s23, s26
	s_add_nc_u64 s[30:31], s[28:29], s[30:31]
	s_mul_hi_u32 s0, s23, s26
	s_mul_hi_u32 s21, s23, s27
	s_add_co_u32 s9, s30, s9
	s_add_co_ci_u32 s28, s31, s0
	s_mul_i32 s26, s23, s27
	s_add_co_ci_u32 s27, s21, 0
	s_delay_alu instid0(SALU_CYCLE_1) | instskip(NEXT) | instid1(SALU_CYCLE_1)
	s_add_nc_u64 s[26:27], s[28:29], s[26:27]
	s_add_co_u32 s22, s22, s26
	s_cselect_b32 s0, -1, 0
	s_delay_alu instid0(SALU_CYCLE_1) | instskip(SKIP_1) | instid1(SALU_CYCLE_1)
	s_cmp_lg_u32 s0, 0
	s_add_co_ci_u32 s23, s23, s27
	s_mul_u64 s[24:25], s[24:25], s[22:23]
	s_delay_alu instid0(SALU_CYCLE_1)
	s_mul_hi_u32 s27, s22, s25
	s_mul_i32 s26, s22, s25
	s_mul_hi_u32 s28, s22, s24
	s_mul_i32 s9, s23, s24
	s_add_nc_u64 s[26:27], s[28:29], s[26:27]
	s_mul_hi_u32 s0, s23, s24
	s_mul_hi_u32 s21, s23, s25
	s_add_co_u32 s9, s26, s9
	s_add_co_ci_u32 s28, s27, s0
	s_mul_i32 s24, s23, s25
	s_add_co_ci_u32 s25, s21, 0
	s_delay_alu instid0(SALU_CYCLE_1) | instskip(NEXT) | instid1(SALU_CYCLE_1)
	s_add_nc_u64 s[24:25], s[28:29], s[24:25]
	s_add_co_u32 s0, s22, s24
	s_cselect_b32 s9, -1, 0
	v_mul_hi_u32 v20, v12, s0
	s_cmp_lg_u32 s9, 0
	s_add_co_ci_u32 s28, s23, s25
	s_mov_b64 s[22:23], 0xffffffff
	v_mul_u64_e32 v[16:17], s[28:29], v[12:13]
	s_and_b64 s[22:23], s[0:1], s[22:23]
	v_mul_u64_e32 v[18:19], s[28:29], v[14:15]
	v_mul_u64_e32 v[10:11], s[22:23], v[14:15]
	s_delay_alu instid0(VALU_DEP_3) | instskip(NEXT) | instid1(VALU_DEP_1)
	v_add_nc_u64_e32 v[16:17], v[20:21], v[16:17]
	v_add_co_u32 v3, vcc_lo, v16, v10
	s_delay_alu instid0(VALU_DEP_2) | instskip(SKIP_1) | instid1(VALU_DEP_1)
	v_add_co_ci_u32_e32 v8, vcc_lo, v17, v11, vcc_lo
	v_add_co_ci_u32_e32 v19, vcc_lo, 0, v19, vcc_lo
	v_add_nc_u64_e32 v[8:9], v[8:9], v[18:19]
	s_delay_alu instid0(VALU_DEP_1) | instskip(NEXT) | instid1(VALU_DEP_1)
	v_mul_u64_e32 v[10:11], s[14:15], v[8:9]
	v_sub_nc_u32_e32 v3, v14, v11
	s_delay_alu instid0(VALU_DEP_2) | instskip(NEXT) | instid1(VALU_DEP_1)
	v_sub_co_u32 v5, vcc_lo, v12, v10
	v_sub_co_ci_u32_e64 v14, null, v14, v11, vcc_lo
	s_delay_alu instid0(VALU_DEP_3) | instskip(NEXT) | instid1(VALU_DEP_3)
	v_subrev_co_ci_u32_e64 v3, null, s15, v3, vcc_lo
	v_sub_co_u32 v7, s0, v5, s14
	v_add_nc_u64_e32 v[12:13], 1, v[8:9]
	s_delay_alu instid0(VALU_DEP_3) | instskip(NEXT) | instid1(VALU_DEP_3)
	v_subrev_co_ci_u32_e64 v3, null, 0, v3, s0
	v_cmp_le_u32_e32 vcc_lo, s14, v7
	v_cndmask_b32_e64 v7, 0, -1, vcc_lo
	s_delay_alu instid0(VALU_DEP_3)
	v_cmp_le_u32_e32 vcc_lo, s15, v3
	v_cndmask_b32_e64 v10, 0, -1, vcc_lo
	v_cmp_le_u32_e32 vcc_lo, s14, v5
	v_cndmask_b32_e64 v5, 0, -1, vcc_lo
	;; [unrolled: 2-line block ×3, first 2 shown]
	v_cmp_eq_u32_e32 vcc_lo, s15, v3
	v_cndmask_b32_e32 v3, v10, v7, vcc_lo
	v_cmp_eq_u32_e32 vcc_lo, s15, v14
	v_add_nc_u64_e32 v[10:11], 2, v[8:9]
	v_cndmask_b32_e32 v5, v15, v5, vcc_lo
	s_delay_alu instid0(VALU_DEP_4) | instskip(NEXT) | instid1(VALU_DEP_2)
	v_cmp_ne_u32_e32 vcc_lo, 0, v3
	v_cmp_ne_u32_e64 s0, 0, v5
	s_delay_alu instid0(VALU_DEP_4) | instskip(NEXT) | instid1(VALU_DEP_1)
	v_dual_cndmask_b32 v3, v13, v11, vcc_lo :: v_dual_cndmask_b32 v5, v12, v10, vcc_lo
                                        ; implicit-def: $vgpr10_vgpr11
	v_dual_cndmask_b32 v3, v9, v3, s0 :: v_dual_cndmask_b32 v5, v8, v5, s0
	s_delay_alu instid0(VALU_DEP_1) | instskip(NEXT) | instid1(VALU_DEP_2)
	v_dual_mov_b32 v7, v6 :: v_dual_bitop2_b32 v9, v3, v6 bitop3:0x14
	v_xor_b32_e32 v8, v5, v6
	s_delay_alu instid0(VALU_DEP_1)
	v_sub_nc_u64_e32 v[6:7], v[8:9], v[6:7]
.LBB2_89:
	s_and_not1_saveexec_b32 s0, s20
	s_cbranch_execz .LBB2_91
; %bb.90:
	v_cvt_f32_u32_e32 v3, s12
	s_sub_co_i32 s8, 0, s12
	s_delay_alu instid0(VALU_DEP_1) | instskip(SKIP_1) | instid1(TRANS32_DEP_1)
	v_rcp_iflag_f32_e32 v3, v3
	v_nop
	v_mul_f32_e32 v3, 0x4f7ffffe, v3
	s_delay_alu instid0(VALU_DEP_1) | instskip(NEXT) | instid1(VALU_DEP_1)
	v_cvt_u32_f32_e32 v3, v3
	v_mul_lo_u32 v5, s8, v3
	s_delay_alu instid0(VALU_DEP_1) | instskip(NEXT) | instid1(VALU_DEP_1)
	v_mul_hi_u32 v5, v3, v5
	v_add_nc_u32_e32 v3, v3, v5
	s_delay_alu instid0(VALU_DEP_1) | instskip(NEXT) | instid1(VALU_DEP_1)
	v_mul_hi_u32 v3, v10, v3
	v_mul_lo_u32 v5, v3, s12
	s_delay_alu instid0(VALU_DEP_1) | instskip(NEXT) | instid1(VALU_DEP_1)
	v_dual_add_nc_u32 v6, 1, v3 :: v_dual_sub_nc_u32 v5, v10, v5
	v_subrev_nc_u32_e32 v7, s12, v5
	v_cmp_le_u32_e32 vcc_lo, s12, v5
	s_delay_alu instid0(VALU_DEP_2) | instskip(NEXT) | instid1(VALU_DEP_4)
	v_dual_cndmask_b32 v5, v5, v7, vcc_lo :: v_dual_mov_b32 v7, 0
	v_cndmask_b32_e32 v3, v3, v6, vcc_lo
	s_delay_alu instid0(VALU_DEP_2) | instskip(NEXT) | instid1(VALU_DEP_2)
	v_cmp_le_u32_e32 vcc_lo, s12, v5
	v_add_nc_u32_e32 v6, 1, v3
	s_delay_alu instid0(VALU_DEP_1)
	v_cndmask_b32_e32 v6, v3, v6, vcc_lo
.LBB2_91:
	s_or_b32 exec_lo, exec_lo, s0
.LBB2_92:
	s_delay_alu instid0(SALU_CYCLE_1) | instskip(SKIP_2) | instid1(VALU_DEP_1)
	s_or_b32 exec_lo, exec_lo, s1
	v_dual_mov_b32 v8, 0 :: v_dual_bitop2_b32 v9, s13, v1 bitop3:0x54
                                        ; implicit-def: $vgpr10_vgpr11
	s_mov_b32 s0, exec_lo
	v_cmpx_ne_u64_e32 0, v[8:9]
	s_xor_b32 s1, exec_lo, s0
	s_cbranch_execz .LBB2_94
; %bb.93:
	s_ashr_i32 s8, s13, 31
	s_mov_b32 s27, 0
	s_mov_b32 s9, s8
	v_dual_mov_b32 v15, v8 :: v_dual_ashrrev_i32 v10, 31, v1
	s_add_nc_u64 s[14:15], s[12:13], s[8:9]
	v_dual_mov_b32 v23, v8 :: v_dual_mov_b32 v9, v8
	s_xor_b64 s[14:15], s[14:15], s[8:9]
	s_delay_alu instid0(VALU_DEP_2) | instskip(SKIP_3) | instid1(VALU_DEP_1)
	v_mov_b32_e32 v11, v10
	s_cvt_f32_u32 s0, s14
	s_cvt_f32_u32 s9, s15
	s_sub_nc_u64 s[22:23], 0, s[14:15]
	v_add_nc_u64_e32 v[12:13], v[0:1], v[10:11]
	s_delay_alu instid0(SALU_CYCLE_1) | instskip(SKIP_1) | instid1(SALU_CYCLE_2)
	s_fmamk_f32 s0, s9, 0x4f800000, s0
	v_mov_b32_e32 v17, v8
	v_s_rcp_f32 s0, s0
	s_delay_alu instid0(VALU_DEP_2) | instskip(NEXT) | instid1(VALU_DEP_3)
	v_xor_b32_e32 v14, v12, v10
	v_xor_b32_e32 v16, v13, v10
	;; [unrolled: 1-line block ×3, first 2 shown]
	s_delay_alu instid0(TRANS32_DEP_1) | instskip(NEXT) | instid1(SALU_CYCLE_3)
	s_mul_f32 s0, s0, 0x5f7ffffc
	s_mul_f32 s9, s0, 0x2f800000
	s_delay_alu instid0(SALU_CYCLE_3) | instskip(NEXT) | instid1(SALU_CYCLE_3)
	s_trunc_f32 s9, s9
	s_fmamk_f32 s0, s9, 0xcf800000, s0
	s_cvt_u32_f32 s21, s9
	s_delay_alu instid0(SALU_CYCLE_2) | instskip(NEXT) | instid1(SALU_CYCLE_3)
	s_cvt_u32_f32 s20, s0
	s_mul_u64 s[24:25], s[22:23], s[20:21]
	s_delay_alu instid0(SALU_CYCLE_1)
	s_mul_hi_u32 s29, s20, s25
	s_mul_i32 s28, s20, s25
	s_mul_hi_u32 s26, s20, s24
	s_mul_i32 s9, s21, s24
	s_add_nc_u64 s[28:29], s[26:27], s[28:29]
	s_mul_hi_u32 s0, s21, s24
	s_mul_hi_u32 s30, s21, s25
	s_add_co_u32 s9, s28, s9
	s_add_co_ci_u32 s26, s29, s0
	s_mul_i32 s24, s21, s25
	s_add_co_ci_u32 s25, s30, 0
	s_delay_alu instid0(SALU_CYCLE_1) | instskip(NEXT) | instid1(SALU_CYCLE_1)
	s_add_nc_u64 s[24:25], s[26:27], s[24:25]
	s_add_co_u32 s20, s20, s24
	s_cselect_b32 s0, -1, 0
	s_delay_alu instid0(SALU_CYCLE_1) | instskip(SKIP_1) | instid1(SALU_CYCLE_1)
	s_cmp_lg_u32 s0, 0
	s_add_co_ci_u32 s21, s21, s25
	s_mul_u64 s[22:23], s[22:23], s[20:21]
	s_delay_alu instid0(SALU_CYCLE_1)
	s_mul_hi_u32 s25, s20, s23
	s_mul_i32 s24, s20, s23
	s_mul_hi_u32 s26, s20, s22
	s_mul_i32 s9, s21, s22
	s_add_nc_u64 s[24:25], s[26:27], s[24:25]
	s_mul_hi_u32 s0, s21, s22
	s_mul_hi_u32 s28, s21, s23
	s_add_co_u32 s9, s24, s9
	s_add_co_ci_u32 s26, s25, s0
	s_mul_i32 s22, s21, s23
	s_add_co_ci_u32 s23, s28, 0
	s_delay_alu instid0(SALU_CYCLE_1) | instskip(NEXT) | instid1(SALU_CYCLE_1)
	s_add_nc_u64 s[22:23], s[26:27], s[22:23]
	s_add_co_u32 s0, s20, s22
	s_cselect_b32 s9, -1, 0
	v_mul_hi_u32 v22, v14, s0
	s_cmp_lg_u32 s9, 0
	s_add_co_ci_u32 s26, s21, s23
	s_mov_b64 s[20:21], 0xffffffff
	v_mul_u64_e32 v[18:19], s[26:27], v[14:15]
	s_and_b64 s[20:21], s[0:1], s[20:21]
	v_mul_u64_e32 v[20:21], s[26:27], v[16:17]
	v_mul_u64_e32 v[12:13], s[20:21], v[16:17]
	s_delay_alu instid0(VALU_DEP_3) | instskip(NEXT) | instid1(VALU_DEP_1)
	v_add_nc_u64_e32 v[18:19], v[22:23], v[18:19]
	v_add_co_u32 v3, vcc_lo, v18, v12
	s_delay_alu instid0(VALU_DEP_2) | instskip(SKIP_1) | instid1(VALU_DEP_1)
	v_add_co_ci_u32_e32 v8, vcc_lo, v19, v13, vcc_lo
	v_add_co_ci_u32_e32 v21, vcc_lo, 0, v21, vcc_lo
	v_add_nc_u64_e32 v[8:9], v[8:9], v[20:21]
	s_delay_alu instid0(VALU_DEP_1) | instskip(NEXT) | instid1(VALU_DEP_1)
	v_mul_u64_e32 v[12:13], s[14:15], v[8:9]
	v_sub_co_u32 v5, vcc_lo, v14, v12
	v_add_nc_u64_e32 v[14:15], 1, v[8:9]
	s_delay_alu instid0(VALU_DEP_3) | instskip(SKIP_1) | instid1(VALU_DEP_4)
	v_sub_nc_u32_e32 v3, v16, v13
	v_sub_co_ci_u32_e64 v16, null, v16, v13, vcc_lo
	v_sub_co_u32 v11, s0, v5, s14
	s_delay_alu instid0(VALU_DEP_3) | instskip(NEXT) | instid1(VALU_DEP_2)
	v_subrev_co_ci_u32_e64 v3, null, s15, v3, vcc_lo
	v_cmp_le_u32_e32 vcc_lo, s14, v11
	s_delay_alu instid0(VALU_DEP_2) | instskip(SKIP_1) | instid1(VALU_DEP_2)
	v_subrev_co_ci_u32_e64 v3, null, 0, v3, s0
	v_cndmask_b32_e64 v11, 0, -1, vcc_lo
	v_cmp_le_u32_e32 vcc_lo, s15, v3
	v_cndmask_b32_e64 v12, 0, -1, vcc_lo
	v_cmp_le_u32_e32 vcc_lo, s14, v5
	;; [unrolled: 2-line block ×3, first 2 shown]
	v_cndmask_b32_e64 v17, 0, -1, vcc_lo
	v_cmp_eq_u32_e32 vcc_lo, s15, v3
	v_cndmask_b32_e32 v3, v12, v11, vcc_lo
	v_cmp_eq_u32_e32 vcc_lo, s15, v16
	v_add_nc_u64_e32 v[12:13], 2, v[8:9]
	v_cndmask_b32_e32 v5, v17, v5, vcc_lo
	s_delay_alu instid0(VALU_DEP_4) | instskip(NEXT) | instid1(VALU_DEP_2)
	v_cmp_ne_u32_e32 vcc_lo, 0, v3
	v_cmp_ne_u32_e64 s0, 0, v5
	s_delay_alu instid0(VALU_DEP_4) | instskip(NEXT) | instid1(VALU_DEP_1)
	v_dual_cndmask_b32 v3, v15, v13, vcc_lo :: v_dual_cndmask_b32 v5, v14, v12, vcc_lo
	v_dual_cndmask_b32 v3, v9, v3, s0 :: v_dual_cndmask_b32 v5, v8, v5, s0
	s_delay_alu instid0(VALU_DEP_1) | instskip(NEXT) | instid1(VALU_DEP_2)
	v_dual_mov_b32 v11, v10 :: v_dual_bitop2_b32 v9, v3, v10 bitop3:0x14
	v_xor_b32_e32 v8, v5, v10
	s_delay_alu instid0(VALU_DEP_1)
	v_sub_nc_u64_e32 v[10:11], v[8:9], v[10:11]
.LBB2_94:
	s_and_not1_saveexec_b32 s0, s1
	s_cbranch_execz .LBB2_96
; %bb.95:
	v_cvt_f32_u32_e32 v3, s12
	s_sub_co_i32 s1, 0, s12
	v_mov_b32_e32 v11, 0
	s_delay_alu instid0(VALU_DEP_2) | instskip(SKIP_1) | instid1(TRANS32_DEP_1)
	v_rcp_iflag_f32_e32 v3, v3
	v_nop
	v_mul_f32_e32 v3, 0x4f7ffffe, v3
	s_delay_alu instid0(VALU_DEP_1) | instskip(NEXT) | instid1(VALU_DEP_1)
	v_cvt_u32_f32_e32 v3, v3
	v_mul_lo_u32 v5, s1, v3
	s_delay_alu instid0(VALU_DEP_1) | instskip(NEXT) | instid1(VALU_DEP_1)
	v_mul_hi_u32 v5, v3, v5
	v_add_nc_u32_e32 v3, v3, v5
	s_delay_alu instid0(VALU_DEP_1) | instskip(NEXT) | instid1(VALU_DEP_1)
	v_mul_hi_u32 v3, v0, v3
	v_mul_lo_u32 v5, v3, s12
	s_delay_alu instid0(VALU_DEP_1) | instskip(NEXT) | instid1(VALU_DEP_1)
	v_sub_nc_u32_e32 v5, v0, v5
	v_subrev_nc_u32_e32 v9, s12, v5
	v_cmp_le_u32_e32 vcc_lo, s12, v5
	s_delay_alu instid0(VALU_DEP_2) | instskip(NEXT) | instid1(VALU_DEP_1)
	v_dual_cndmask_b32 v5, v5, v9 :: v_dual_add_nc_u32 v8, 1, v3
	v_cndmask_b32_e32 v3, v3, v8, vcc_lo
	s_delay_alu instid0(VALU_DEP_2) | instskip(NEXT) | instid1(VALU_DEP_2)
	v_cmp_le_u32_e32 vcc_lo, s12, v5
	v_add_nc_u32_e32 v8, 1, v3
	s_delay_alu instid0(VALU_DEP_1)
	v_cndmask_b32_e32 v10, v3, v8, vcc_lo
.LBB2_96:
	s_or_b32 exec_lo, exec_lo, s0
	v_mul_u64_e32 v[12:13], s[12:13], v[6:7]
	s_delay_alu instid0(VALU_DEP_2) | instskip(SKIP_1) | instid1(VALU_DEP_2)
	v_min_i64 v[8:9], v[10:11], s[2:3]
	s_mov_b32 s2, 0
	v_add_nc_u64_e32 v[10:11], s[10:11], v[12:13]
	v_cmp_gt_i64_e32 vcc_lo, v[12:13], v[0:1]
	s_delay_alu instid0(VALU_DEP_2) | instskip(SKIP_2) | instid1(SALU_CYCLE_1)
	v_cmp_ge_i64_e64 s0, v[0:1], v[10:11]
	v_mov_b32_e32 v11, s2
	s_or_b32 s0, vcc_lo, s0
	v_cndmask_b32_e64 v10, 0, 1, s0
	s_delay_alu instid0(VALU_DEP_1) | instskip(NEXT) | instid1(VALU_DEP_1)
	v_add_nc_u64_e32 v[6:7], v[6:7], v[10:11]
	v_cmp_le_i64_e32 vcc_lo, v[6:7], v[8:9]
	s_and_b32 exec_lo, exec_lo, vcc_lo
	s_cbranch_execz .LBB2_99
; %bb.97:
	global_load_b32 v10, v2, s[4:5]
	v_mul_u64_e32 v[12:13], s[12:13], v[6:7]
	v_mov_b32_e32 v3, 0
	s_mul_u64 s[0:1], s[12:13], s[18:19]
	s_delay_alu instid0(SALU_CYCLE_1) | instskip(NEXT) | instid1(VALU_DEP_1)
	s_lshl_b64 s[0:1], s[0:1], 2
	v_mov_b32_e32 v5, v3
	s_delay_alu instid0(VALU_DEP_3) | instskip(SKIP_1) | instid1(VALU_DEP_2)
	v_sub_nc_u64_e32 v[0:1], v[0:1], v[12:13]
	v_mul_u64_e32 v[12:13], s[16:17], v[6:7]
	v_mul_u64_e32 v[0:1], s[18:19], v[0:1]
	s_delay_alu instid0(VALU_DEP_2) | instskip(NEXT) | instid1(VALU_DEP_1)
	v_lshlrev_b64_e32 v[12:13], 2, v[12:13]
	v_lshl_add_u64 v[0:1], v[0:1], 2, v[12:13]
	s_delay_alu instid0(VALU_DEP_1) | instskip(SKIP_4) | instid1(SALU_CYCLE_1)
	v_add_nc_u64_e32 v[4:5], v[0:1], v[4:5]
	v_add_nc_u64_e32 v[0:1], s[4:5], v[2:3]
	s_wait_xcnt 0x0
	v_add_nc_u64_e32 v[2:3], -1, v[6:7]
	s_lshl_b64 s[4:5], s[16:17], 2
	s_sub_nc_u64 s[0:1], s[4:5], s[0:1]
	s_delay_alu instid0(VALU_DEP_3)
	v_add_nc_u64_e32 v[4:5], s[6:7], v[4:5]
.LBB2_98:                               ; =>This Inner Loop Header: Depth=1
	global_load_b32 v6, v[4:5], off
	v_add_nc_u64_e32 v[2:3], 1, v[2:3]
	s_wait_xcnt 0x0
	v_add_nc_u64_e32 v[4:5], s[0:1], v[4:5]
	s_delay_alu instid0(VALU_DEP_2)
	v_cmp_ge_i64_e32 vcc_lo, v[2:3], v[8:9]
	s_or_b32 s2, vcc_lo, s2
	s_wait_loadcnt 0x0
	v_add_nc_u32_e32 v10, v6, v10
	global_store_b32 v[0:1], v10, off
	s_wait_xcnt 0x0
	s_and_not1_b32 exec_lo, exec_lo, s2
	s_cbranch_execnz .LBB2_98
.LBB2_99:
	s_endpgm
	.section	.rodata,"a",@progbits
	.p2align	6, 0x0
	.amdhsa_kernel _ZN2at6native12_GLOBAL__N_135_unfold_backward_elementwise_kernelILi256ELi4EZNS1_32_unfold_backward_internal_kernelIiEEvRNS_14TensorIteratorEllllllEUliE_EEviT1_
		.amdhsa_group_segment_fixed_size 0
		.amdhsa_private_segment_fixed_size 0
		.amdhsa_kernarg_size 464
		.amdhsa_user_sgpr_count 2
		.amdhsa_user_sgpr_dispatch_ptr 0
		.amdhsa_user_sgpr_queue_ptr 0
		.amdhsa_user_sgpr_kernarg_segment_ptr 1
		.amdhsa_user_sgpr_dispatch_id 0
		.amdhsa_user_sgpr_kernarg_preload_length 0
		.amdhsa_user_sgpr_kernarg_preload_offset 0
		.amdhsa_user_sgpr_private_segment_size 0
		.amdhsa_wavefront_size32 1
		.amdhsa_uses_dynamic_stack 0
		.amdhsa_enable_private_segment 0
		.amdhsa_system_sgpr_workgroup_id_x 1
		.amdhsa_system_sgpr_workgroup_id_y 0
		.amdhsa_system_sgpr_workgroup_id_z 0
		.amdhsa_system_sgpr_workgroup_info 0
		.amdhsa_system_vgpr_workitem_id 0
		.amdhsa_next_free_vgpr 28
		.amdhsa_next_free_sgpr 56
		.amdhsa_named_barrier_count 0
		.amdhsa_reserve_vcc 1
		.amdhsa_float_round_mode_32 0
		.amdhsa_float_round_mode_16_64 0
		.amdhsa_float_denorm_mode_32 3
		.amdhsa_float_denorm_mode_16_64 3
		.amdhsa_fp16_overflow 0
		.amdhsa_memory_ordered 1
		.amdhsa_forward_progress 1
		.amdhsa_inst_pref_size 76
		.amdhsa_round_robin_scheduling 0
		.amdhsa_exception_fp_ieee_invalid_op 0
		.amdhsa_exception_fp_denorm_src 0
		.amdhsa_exception_fp_ieee_div_zero 0
		.amdhsa_exception_fp_ieee_overflow 0
		.amdhsa_exception_fp_ieee_underflow 0
		.amdhsa_exception_fp_ieee_inexact 0
		.amdhsa_exception_int_div_zero 0
	.end_amdhsa_kernel
	.section	.text._ZN2at6native12_GLOBAL__N_135_unfold_backward_elementwise_kernelILi256ELi4EZNS1_32_unfold_backward_internal_kernelIiEEvRNS_14TensorIteratorEllllllEUliE_EEviT1_,"axG",@progbits,_ZN2at6native12_GLOBAL__N_135_unfold_backward_elementwise_kernelILi256ELi4EZNS1_32_unfold_backward_internal_kernelIiEEvRNS_14TensorIteratorEllllllEUliE_EEviT1_,comdat
.Lfunc_end2:
	.size	_ZN2at6native12_GLOBAL__N_135_unfold_backward_elementwise_kernelILi256ELi4EZNS1_32_unfold_backward_internal_kernelIiEEvRNS_14TensorIteratorEllllllEUliE_EEviT1_, .Lfunc_end2-_ZN2at6native12_GLOBAL__N_135_unfold_backward_elementwise_kernelILi256ELi4EZNS1_32_unfold_backward_internal_kernelIiEEvRNS_14TensorIteratorEllllllEUliE_EEviT1_
                                        ; -- End function
	.set _ZN2at6native12_GLOBAL__N_135_unfold_backward_elementwise_kernelILi256ELi4EZNS1_32_unfold_backward_internal_kernelIiEEvRNS_14TensorIteratorEllllllEUliE_EEviT1_.num_vgpr, 28
	.set _ZN2at6native12_GLOBAL__N_135_unfold_backward_elementwise_kernelILi256ELi4EZNS1_32_unfold_backward_internal_kernelIiEEvRNS_14TensorIteratorEllllllEUliE_EEviT1_.num_agpr, 0
	.set _ZN2at6native12_GLOBAL__N_135_unfold_backward_elementwise_kernelILi256ELi4EZNS1_32_unfold_backward_internal_kernelIiEEvRNS_14TensorIteratorEllllllEUliE_EEviT1_.numbered_sgpr, 56
	.set _ZN2at6native12_GLOBAL__N_135_unfold_backward_elementwise_kernelILi256ELi4EZNS1_32_unfold_backward_internal_kernelIiEEvRNS_14TensorIteratorEllllllEUliE_EEviT1_.num_named_barrier, 0
	.set _ZN2at6native12_GLOBAL__N_135_unfold_backward_elementwise_kernelILi256ELi4EZNS1_32_unfold_backward_internal_kernelIiEEvRNS_14TensorIteratorEllllllEUliE_EEviT1_.private_seg_size, 0
	.set _ZN2at6native12_GLOBAL__N_135_unfold_backward_elementwise_kernelILi256ELi4EZNS1_32_unfold_backward_internal_kernelIiEEvRNS_14TensorIteratorEllllllEUliE_EEviT1_.uses_vcc, 1
	.set _ZN2at6native12_GLOBAL__N_135_unfold_backward_elementwise_kernelILi256ELi4EZNS1_32_unfold_backward_internal_kernelIiEEvRNS_14TensorIteratorEllllllEUliE_EEviT1_.uses_flat_scratch, 0
	.set _ZN2at6native12_GLOBAL__N_135_unfold_backward_elementwise_kernelILi256ELi4EZNS1_32_unfold_backward_internal_kernelIiEEvRNS_14TensorIteratorEllllllEUliE_EEviT1_.has_dyn_sized_stack, 0
	.set _ZN2at6native12_GLOBAL__N_135_unfold_backward_elementwise_kernelILi256ELi4EZNS1_32_unfold_backward_internal_kernelIiEEvRNS_14TensorIteratorEllllllEUliE_EEviT1_.has_recursion, 0
	.set _ZN2at6native12_GLOBAL__N_135_unfold_backward_elementwise_kernelILi256ELi4EZNS1_32_unfold_backward_internal_kernelIiEEvRNS_14TensorIteratorEllllllEUliE_EEviT1_.has_indirect_call, 0
	.section	.AMDGPU.csdata,"",@progbits
; Kernel info:
; codeLenInByte = 9716
; TotalNumSgprs: 58
; NumVgprs: 28
; ScratchSize: 0
; MemoryBound: 0
; FloatMode: 240
; IeeeMode: 1
; LDSByteSize: 0 bytes/workgroup (compile time only)
; SGPRBlocks: 0
; VGPRBlocks: 1
; NumSGPRsForWavesPerEU: 58
; NumVGPRsForWavesPerEU: 28
; NamedBarCnt: 0
; Occupancy: 16
; WaveLimiterHint : 1
; COMPUTE_PGM_RSRC2:SCRATCH_EN: 0
; COMPUTE_PGM_RSRC2:USER_SGPR: 2
; COMPUTE_PGM_RSRC2:TRAP_HANDLER: 0
; COMPUTE_PGM_RSRC2:TGID_X_EN: 1
; COMPUTE_PGM_RSRC2:TGID_Y_EN: 0
; COMPUTE_PGM_RSRC2:TGID_Z_EN: 0
; COMPUTE_PGM_RSRC2:TIDIG_COMP_CNT: 0
	.section	.text._ZN2at6native12_GLOBAL__N_135_unfold_backward_elementwise_kernelILi256ELi4EZNS1_32_unfold_backward_internal_kernelIlEEvRNS_14TensorIteratorEllllllEUliE_EEviT1_,"axG",@progbits,_ZN2at6native12_GLOBAL__N_135_unfold_backward_elementwise_kernelILi256ELi4EZNS1_32_unfold_backward_internal_kernelIlEEvRNS_14TensorIteratorEllllllEUliE_EEviT1_,comdat
	.globl	_ZN2at6native12_GLOBAL__N_135_unfold_backward_elementwise_kernelILi256ELi4EZNS1_32_unfold_backward_internal_kernelIlEEvRNS_14TensorIteratorEllllllEUliE_EEviT1_ ; -- Begin function _ZN2at6native12_GLOBAL__N_135_unfold_backward_elementwise_kernelILi256ELi4EZNS1_32_unfold_backward_internal_kernelIlEEvRNS_14TensorIteratorEllllllEUliE_EEviT1_
	.p2align	8
	.type	_ZN2at6native12_GLOBAL__N_135_unfold_backward_elementwise_kernelILi256ELi4EZNS1_32_unfold_backward_internal_kernelIlEEvRNS_14TensorIteratorEllllllEUliE_EEviT1_,@function
_ZN2at6native12_GLOBAL__N_135_unfold_backward_elementwise_kernelILi256ELi4EZNS1_32_unfold_backward_internal_kernelIlEEvRNS_14TensorIteratorEllllllEUliE_EEviT1_: ; @_ZN2at6native12_GLOBAL__N_135_unfold_backward_elementwise_kernelILi256ELi4EZNS1_32_unfold_backward_internal_kernelIlEEvRNS_14TensorIteratorEllllllEUliE_EEviT1_
; %bb.0:
	s_clause 0x2
	s_load_b128 s[20:23], s[0:1], 0x8
	s_load_b32 s31, s[0:1], 0x0
	s_load_b512 s[4:19], s[0:1], 0x190
	s_bfe_u32 s3, ttmp6, 0x4000c
	s_clause 0x2
	s_load_b96 s[28:30], s[0:1], 0x18
	s_load_b128 s[24:27], s[0:1], 0xcc
	s_load_b64 s[34:35], s[0:1], 0xdc
	s_add_co_i32 s3, s3, 1
	s_and_b32 s2, ttmp6, 15
	s_mul_i32 s3, ttmp9, s3
	s_getreg_b32 s33, hwreg(HW_REG_IB_STS2, 6, 4)
	s_add_co_i32 s2, s2, s3
	s_add_nc_u64 s[40:41], s[0:1], 8
	s_cmp_eq_u32 s33, 0
	s_mov_b32 s37, 0
	s_cselect_b32 s2, ttmp9, s2
	s_mov_b32 s42, -1
	v_lshl_or_b32 v0, s2, 10, v0
	s_mov_b32 s39, s37
	s_wait_kmcnt 0x0
	v_sub_co_u32 v1, s3, s20, 1
	s_mov_b32 s36, s22
	s_xor_b32 s33, s3, -1
	s_mov_b32 s38, s29
	v_readfirstlane_b32 s1, v1
	v_cmp_lt_u32_e32 vcc_lo, 1, v1
	s_add_nc_u64 s[2:3], s[14:15], -1
	s_mov_b32 s29, exec_lo
	s_min_u32 s22, s1, 15
	v_cndmask_b32_e64 v14, 0, 1, vcc_lo
	s_cmp_gt_u32 s20, 1
	s_cselect_b32 s20, -1, 0
	v_cmpx_gt_i32_e64 s31, v0
	s_cbranch_execnz .LBB3_4
; %bb.1:
	s_or_b32 exec_lo, exec_lo, s29
	s_delay_alu instid0(SALU_CYCLE_1)
	s_mov_b32 s29, exec_lo
	v_cmpx_gt_i32_e64 s31, v0
	s_cbranch_execnz .LBB3_28
.LBB3_2:
	s_or_b32 exec_lo, exec_lo, s29
	s_delay_alu instid0(SALU_CYCLE_1)
	s_mov_b32 s29, exec_lo
	v_cmpx_gt_i32_e64 s31, v0
	s_cbranch_execnz .LBB3_52
.LBB3_3:
	s_or_b32 exec_lo, exec_lo, s29
	s_delay_alu instid0(SALU_CYCLE_1)
	s_mov_b32 s0, exec_lo
	v_cmpx_gt_i32_e64 s31, v0
	s_cbranch_execnz .LBB3_76
	s_branch .LBB3_99
.LBB3_4:
	s_and_not1_b32 vcc_lo, exec_lo, vcc_lo
                                        ; implicit-def: $vgpr3
                                        ; implicit-def: $vgpr4
                                        ; implicit-def: $vgpr2
	s_cbranch_vccnz .LBB3_11
; %bb.5:
	v_dual_mov_b32 v3, 0 :: v_dual_mov_b32 v4, 0
	v_mov_b32_e32 v2, 0
	s_and_not1_b32 vcc_lo, exec_lo, s33
	s_cbranch_vccnz .LBB3_10
; %bb.6:
	v_dual_mov_b32 v2, 0 :: v_dual_mov_b32 v1, v0
	v_dual_mov_b32 v4, 0 :: v_dual_mov_b32 v3, 0
	s_add_co_i32 s14, s22, 1
	s_mov_b64 s[0:1], 0xffffffffffffffe8
	s_and_b32 s14, s14, 30
	s_add_nc_u64 s[0:1], s[40:41], s[0:1]
.LBB3_7:                                ; =>This Inner Loop Header: Depth=1
	s_clause 0x1
	s_load_b128 s[44:47], s[0:1], 0x1c
	s_load_b64 s[42:43], s[0:1], 0x2c
	s_add_co_i32 s14, s14, -2
	s_delay_alu instid0(SALU_CYCLE_1) | instskip(SKIP_2) | instid1(VALU_DEP_1)
	s_cmp_lg_u32 s14, 0
	s_wait_kmcnt 0x0
	v_mul_hi_u32 v5, s45, v1
	v_add_nc_u32_e32 v5, v1, v5
	s_delay_alu instid0(VALU_DEP_1) | instskip(NEXT) | instid1(VALU_DEP_1)
	v_lshrrev_b32_e32 v5, s46, v5
	v_mul_hi_u32 v6, s42, v5
	v_mul_lo_u32 v7, v5, s44
	s_clause 0x1
	s_load_b128 s[48:51], s[0:1], 0xdc
	s_load_b64 s[44:45], s[0:1], 0xec
	s_wait_xcnt 0x0
	s_add_nc_u64 s[0:1], s[0:1], 24
	s_delay_alu instid0(VALU_DEP_2) | instskip(NEXT) | instid1(VALU_DEP_1)
	v_add_nc_u32_e32 v6, v5, v6
	v_dual_sub_nc_u32 v7, v1, v7 :: v_dual_lshrrev_b32 v1, s43, v6
	s_wait_kmcnt 0x0
	s_delay_alu instid0(VALU_DEP_1) | instskip(NEXT) | instid1(VALU_DEP_2)
	v_mad_u32 v2, v7, s48, v2
	v_mul_lo_u32 v6, v1, s47
	v_mad_u32 v3, v7, s50, v3
	v_mad_u32 v4, v7, s49, v4
	s_delay_alu instid0(VALU_DEP_3) | instskip(NEXT) | instid1(VALU_DEP_1)
	v_sub_nc_u32_e32 v5, v5, v6
	v_mad_u32 v2, v5, s51, v2
	s_delay_alu instid0(VALU_DEP_4) | instskip(NEXT) | instid1(VALU_DEP_4)
	v_mad_u32 v3, v5, s45, v3
	v_mad_u32 v4, v5, s44, v4
	s_cbranch_scc1 .LBB3_7
; %bb.8:
	s_bitcmp1_b32 s22, 0
	s_cselect_b32 s14, -1, 0
	s_delay_alu instid0(SALU_CYCLE_1)
	s_and_b32 vcc_lo, exec_lo, s14
	s_cbranch_vccnz .LBB3_10
; %bb.9:
	s_clause 0x1
	s_load_b96 s[44:46], s[0:1], 0x1c
	s_load_b96 s[48:50], s[0:1], 0xdc
	s_wait_kmcnt 0x0
	v_mul_hi_u32 v5, s45, v1
	s_delay_alu instid0(VALU_DEP_1) | instskip(NEXT) | instid1(VALU_DEP_1)
	v_add_nc_u32_e32 v5, v1, v5
	v_lshrrev_b32_e32 v5, s46, v5
	s_delay_alu instid0(VALU_DEP_1) | instskip(NEXT) | instid1(VALU_DEP_1)
	v_mul_lo_u32 v5, v5, s44
	v_sub_nc_u32_e32 v1, v1, v5
	s_delay_alu instid0(VALU_DEP_1)
	v_mad_u32 v2, v1, s48, v2
	v_mad_u32 v4, v1, s49, v4
	;; [unrolled: 1-line block ×3, first 2 shown]
.LBB3_10:
	s_mov_b32 s42, 0
.LBB3_11:
	s_delay_alu instid0(SALU_CYCLE_1)
	s_and_not1_b32 vcc_lo, exec_lo, s42
	s_cbranch_vccnz .LBB3_14
; %bb.12:
	v_mov_b32_e32 v1, 0
	s_and_not1_b32 vcc_lo, exec_lo, s20
	s_delay_alu instid0(VALU_DEP_1) | instskip(NEXT) | instid1(VALU_DEP_1)
	v_mul_u64_e32 v[2:3], s[36:37], v[0:1]
	v_add_nc_u32_e32 v2, v0, v3
	s_delay_alu instid0(VALU_DEP_1) | instskip(NEXT) | instid1(VALU_DEP_1)
	v_lshrrev_b32_e32 v6, s23, v2
	v_mul_lo_u32 v2, v6, s21
	s_delay_alu instid0(VALU_DEP_1) | instskip(NEXT) | instid1(VALU_DEP_1)
	v_sub_nc_u32_e32 v4, v0, v2
	v_mul_lo_u32 v2, v4, s24
	v_mul_lo_u32 v3, v4, s26
	;; [unrolled: 1-line block ×3, first 2 shown]
	s_cbranch_vccnz .LBB3_14
; %bb.13:
	v_mov_b32_e32 v7, v1
	s_delay_alu instid0(VALU_DEP_1) | instskip(NEXT) | instid1(VALU_DEP_1)
	v_mul_u64_e32 v[8:9], s[38:39], v[6:7]
	v_add_nc_u32_e32 v1, v6, v9
	s_delay_alu instid0(VALU_DEP_1) | instskip(NEXT) | instid1(VALU_DEP_1)
	v_lshrrev_b32_e32 v1, s30, v1
	v_mul_lo_u32 v1, v1, s28
	s_delay_alu instid0(VALU_DEP_1) | instskip(NEXT) | instid1(VALU_DEP_1)
	v_sub_nc_u32_e32 v1, v6, v1
	v_mad_u32 v2, v1, s27, v2
	v_mad_u32 v4, v1, s34, v4
	;; [unrolled: 1-line block ×3, first 2 shown]
.LBB3_14:
	global_load_b64 v[6:7], v3, s[8:9]
	v_mov_b64_e32 v[8:9], 0
	s_mov_b32 s1, exec_lo
	s_wait_loadcnt 0x0
	v_cmpx_lt_i64_e64 s[10:11], v[6:7]
	s_cbranch_execz .LBB3_20
; %bb.15:
	v_sub_nc_u64_e64 v[12:13], v[6:7], s[10:11]
                                        ; implicit-def: $vgpr8_vgpr9
	s_mov_b32 s0, exec_lo
	s_delay_alu instid0(VALU_DEP_1) | instskip(NEXT) | instid1(VALU_DEP_1)
	v_dual_mov_b32 v10, 0 :: v_dual_bitop2_b32 v11, s13, v13 bitop3:0x54
	v_cmpx_ne_u64_e32 0, v[10:11]
	s_xor_b32 s44, exec_lo, s0
	s_cbranch_execz .LBB3_17
; %bb.16:
	s_ashr_i32 s14, s13, 31
	s_mov_b32 s53, 0
	s_mov_b32 s15, s14
	v_dual_mov_b32 v17, v10 :: v_dual_ashrrev_i32 v8, 31, v13
	s_add_nc_u64 s[42:43], s[12:13], s[14:15]
	v_mov_b32_e32 v19, v10
	s_xor_b64 s[42:43], s[42:43], s[14:15]
	s_delay_alu instid0(VALU_DEP_2)
	v_mov_b32_e32 v9, v8
	s_cvt_f32_u32 s0, s42
	s_cvt_f32_u32 s15, s43
	s_sub_nc_u64 s[48:49], 0, s[42:43]
	v_mov_b32_e32 v25, v10
	v_add_nc_u64_e32 v[12:13], v[12:13], v[8:9]
	s_fmamk_f32 s0, s15, 0x4f800000, s0
	v_mov_b32_e32 v11, v10
	s_delay_alu instid0(SALU_CYCLE_2) | instskip(NEXT) | instid1(VALU_DEP_2)
	v_s_rcp_f32 s0, s0
	v_xor_b32_e32 v16, v12, v8
	s_delay_alu instid0(VALU_DEP_3) | instskip(SKIP_1) | instid1(TRANS32_DEP_1)
	v_xor_b32_e32 v18, v13, v8
	v_xor_b32_e32 v8, s14, v8
	s_mul_f32 s0, s0, 0x5f7ffffc
	s_delay_alu instid0(SALU_CYCLE_3) | instskip(NEXT) | instid1(SALU_CYCLE_3)
	s_mul_f32 s15, s0, 0x2f800000
	s_trunc_f32 s15, s15
	s_delay_alu instid0(SALU_CYCLE_3) | instskip(SKIP_1) | instid1(SALU_CYCLE_2)
	s_fmamk_f32 s0, s15, 0xcf800000, s0
	s_cvt_u32_f32 s47, s15
	s_cvt_u32_f32 s46, s0
	s_delay_alu instid0(SALU_CYCLE_3) | instskip(NEXT) | instid1(SALU_CYCLE_1)
	s_mul_u64 s[50:51], s[48:49], s[46:47]
	s_mul_hi_u32 s55, s46, s51
	s_mul_i32 s54, s46, s51
	s_mul_hi_u32 s52, s46, s50
	s_mul_i32 s15, s47, s50
	s_add_nc_u64 s[54:55], s[52:53], s[54:55]
	s_mul_hi_u32 s0, s47, s50
	s_mul_hi_u32 s45, s47, s51
	s_add_co_u32 s15, s54, s15
	s_add_co_ci_u32 s52, s55, s0
	s_mul_i32 s50, s47, s51
	s_add_co_ci_u32 s51, s45, 0
	s_delay_alu instid0(SALU_CYCLE_1) | instskip(NEXT) | instid1(SALU_CYCLE_1)
	s_add_nc_u64 s[50:51], s[52:53], s[50:51]
	s_add_co_u32 s46, s46, s50
	s_cselect_b32 s0, -1, 0
	s_delay_alu instid0(SALU_CYCLE_1) | instskip(SKIP_1) | instid1(SALU_CYCLE_1)
	s_cmp_lg_u32 s0, 0
	s_add_co_ci_u32 s47, s47, s51
	s_mul_u64 s[48:49], s[48:49], s[46:47]
	s_delay_alu instid0(SALU_CYCLE_1)
	s_mul_hi_u32 s51, s46, s49
	s_mul_i32 s50, s46, s49
	s_mul_hi_u32 s52, s46, s48
	s_mul_i32 s15, s47, s48
	s_add_nc_u64 s[50:51], s[52:53], s[50:51]
	s_mul_hi_u32 s0, s47, s48
	s_mul_hi_u32 s45, s47, s49
	s_add_co_u32 s15, s50, s15
	s_add_co_ci_u32 s52, s51, s0
	s_mul_i32 s48, s47, s49
	s_add_co_ci_u32 s49, s45, 0
	s_delay_alu instid0(SALU_CYCLE_1) | instskip(NEXT) | instid1(SALU_CYCLE_1)
	s_add_nc_u64 s[48:49], s[52:53], s[48:49]
	s_add_co_u32 s0, s46, s48
	s_cselect_b32 s15, -1, 0
	v_mul_hi_u32 v24, v16, s0
	s_cmp_lg_u32 s15, 0
	s_add_co_ci_u32 s52, s47, s49
	s_mov_b64 s[46:47], 0xffffffff
	v_mul_u64_e32 v[20:21], s[52:53], v[16:17]
	s_and_b64 s[46:47], s[0:1], s[46:47]
	v_mul_u64_e32 v[22:23], s[52:53], v[18:19]
	v_mul_u64_e32 v[12:13], s[46:47], v[18:19]
	s_delay_alu instid0(VALU_DEP_3) | instskip(NEXT) | instid1(VALU_DEP_1)
	v_add_nc_u64_e32 v[20:21], v[24:25], v[20:21]
	v_add_co_u32 v1, vcc_lo, v20, v12
	s_delay_alu instid0(VALU_DEP_2) | instskip(SKIP_1) | instid1(VALU_DEP_1)
	v_add_co_ci_u32_e32 v10, vcc_lo, v21, v13, vcc_lo
	v_add_co_ci_u32_e32 v23, vcc_lo, 0, v23, vcc_lo
	v_add_nc_u64_e32 v[10:11], v[10:11], v[22:23]
	s_delay_alu instid0(VALU_DEP_1) | instskip(NEXT) | instid1(VALU_DEP_1)
	v_mul_u64_e32 v[12:13], s[42:43], v[10:11]
	v_sub_nc_u32_e32 v1, v18, v13
	s_delay_alu instid0(VALU_DEP_2) | instskip(NEXT) | instid1(VALU_DEP_1)
	v_sub_co_u32 v3, vcc_lo, v16, v12
	v_sub_co_ci_u32_e64 v9, null, v18, v13, vcc_lo
	s_delay_alu instid0(VALU_DEP_3) | instskip(NEXT) | instid1(VALU_DEP_3)
	v_subrev_co_ci_u32_e64 v1, null, s43, v1, vcc_lo
	v_sub_co_u32 v5, s0, v3, s42
	v_add_nc_u64_e32 v[16:17], 1, v[10:11]
	s_delay_alu instid0(VALU_DEP_3) | instskip(NEXT) | instid1(VALU_DEP_3)
	v_subrev_co_ci_u32_e64 v1, null, 0, v1, s0
	v_cmp_le_u32_e32 vcc_lo, s42, v5
	v_cndmask_b32_e64 v5, 0, -1, vcc_lo
	s_delay_alu instid0(VALU_DEP_3)
	v_cmp_le_u32_e32 vcc_lo, s43, v1
	v_cndmask_b32_e64 v12, 0, -1, vcc_lo
	v_cmp_le_u32_e32 vcc_lo, s42, v3
	v_cndmask_b32_e64 v3, 0, -1, vcc_lo
	v_cmp_le_u32_e32 vcc_lo, s43, v9
	v_cndmask_b32_e64 v15, 0, -1, vcc_lo
	v_cmp_eq_u32_e32 vcc_lo, s43, v1
	v_cndmask_b32_e32 v1, v12, v5, vcc_lo
	v_cmp_eq_u32_e32 vcc_lo, s43, v9
	v_add_nc_u64_e32 v[12:13], 2, v[10:11]
	v_cndmask_b32_e32 v3, v15, v3, vcc_lo
	s_delay_alu instid0(VALU_DEP_4) | instskip(NEXT) | instid1(VALU_DEP_2)
	v_cmp_ne_u32_e32 vcc_lo, 0, v1
	v_cmp_ne_u32_e64 s0, 0, v3
	s_delay_alu instid0(VALU_DEP_4) | instskip(NEXT) | instid1(VALU_DEP_1)
	v_dual_cndmask_b32 v1, v17, v13, vcc_lo :: v_dual_cndmask_b32 v3, v16, v12, vcc_lo
                                        ; implicit-def: $vgpr12_vgpr13
	v_dual_cndmask_b32 v1, v11, v1, s0 :: v_dual_cndmask_b32 v3, v10, v3, s0
	s_delay_alu instid0(VALU_DEP_1) | instskip(NEXT) | instid1(VALU_DEP_2)
	v_dual_mov_b32 v9, v8 :: v_dual_bitop2_b32 v11, v1, v8 bitop3:0x14
	v_xor_b32_e32 v10, v3, v8
	s_delay_alu instid0(VALU_DEP_1)
	v_sub_nc_u64_e32 v[8:9], v[10:11], v[8:9]
.LBB3_17:
	s_and_not1_saveexec_b32 s0, s44
	s_cbranch_execz .LBB3_19
; %bb.18:
	v_cvt_f32_u32_e32 v1, s12
	s_sub_co_i32 s14, 0, s12
	v_mov_b32_e32 v9, 0
	s_delay_alu instid0(VALU_DEP_2) | instskip(SKIP_1) | instid1(TRANS32_DEP_1)
	v_rcp_iflag_f32_e32 v1, v1
	v_nop
	v_mul_f32_e32 v1, 0x4f7ffffe, v1
	s_delay_alu instid0(VALU_DEP_1) | instskip(NEXT) | instid1(VALU_DEP_1)
	v_cvt_u32_f32_e32 v1, v1
	v_mul_lo_u32 v3, s14, v1
	s_delay_alu instid0(VALU_DEP_1) | instskip(NEXT) | instid1(VALU_DEP_1)
	v_mul_hi_u32 v3, v1, v3
	v_add_nc_u32_e32 v1, v1, v3
	s_delay_alu instid0(VALU_DEP_1) | instskip(NEXT) | instid1(VALU_DEP_1)
	v_mul_hi_u32 v1, v12, v1
	v_mul_lo_u32 v3, v1, s12
	s_delay_alu instid0(VALU_DEP_1) | instskip(NEXT) | instid1(VALU_DEP_1)
	v_sub_nc_u32_e32 v3, v12, v3
	v_subrev_nc_u32_e32 v8, s12, v3
	v_cmp_le_u32_e32 vcc_lo, s12, v3
	s_delay_alu instid0(VALU_DEP_2) | instskip(NEXT) | instid1(VALU_DEP_1)
	v_dual_add_nc_u32 v5, 1, v1 :: v_dual_cndmask_b32 v3, v3, v8, vcc_lo
	v_cndmask_b32_e32 v1, v1, v5, vcc_lo
	s_delay_alu instid0(VALU_DEP_2) | instskip(NEXT) | instid1(VALU_DEP_2)
	v_cmp_le_u32_e32 vcc_lo, s12, v3
	v_add_nc_u32_e32 v5, 1, v1
	s_delay_alu instid0(VALU_DEP_1)
	v_cndmask_b32_e32 v8, v1, v5, vcc_lo
.LBB3_19:
	s_or_b32 exec_lo, exec_lo, s0
.LBB3_20:
	s_delay_alu instid0(SALU_CYCLE_1) | instskip(SKIP_2) | instid1(VALU_DEP_1)
	s_or_b32 exec_lo, exec_lo, s1
	v_dual_mov_b32 v10, 0 :: v_dual_bitop2_b32 v11, s13, v7 bitop3:0x54
                                        ; implicit-def: $vgpr12_vgpr13
	s_mov_b32 s0, exec_lo
	v_cmpx_ne_u64_e32 0, v[10:11]
	s_xor_b32 s1, exec_lo, s0
	s_cbranch_execz .LBB3_22
; %bb.21:
	s_ashr_i32 s14, s13, 31
	s_mov_b32 s51, 0
	s_mov_b32 s15, s14
	v_dual_mov_b32 v19, v10 :: v_dual_ashrrev_i32 v12, 31, v7
	s_add_nc_u64 s[42:43], s[12:13], s[14:15]
	v_mov_b32_e32 v21, v10
	s_xor_b64 s[42:43], s[42:43], s[14:15]
	s_delay_alu instid0(VALU_DEP_2)
	v_mov_b32_e32 v13, v12
	s_cvt_f32_u32 s0, s42
	s_cvt_f32_u32 s15, s43
	s_sub_nc_u64 s[46:47], 0, s[42:43]
	v_mov_b32_e32 v27, v10
	v_add_nc_u64_e32 v[16:17], v[6:7], v[12:13]
	s_fmamk_f32 s0, s15, 0x4f800000, s0
	v_mov_b32_e32 v11, v10
	s_delay_alu instid0(SALU_CYCLE_2) | instskip(NEXT) | instid1(VALU_DEP_2)
	v_s_rcp_f32 s0, s0
	v_xor_b32_e32 v18, v16, v12
	s_delay_alu instid0(VALU_DEP_3) | instskip(SKIP_1) | instid1(TRANS32_DEP_1)
	v_xor_b32_e32 v20, v17, v12
	v_xor_b32_e32 v12, s14, v12
	s_mul_f32 s0, s0, 0x5f7ffffc
	s_delay_alu instid0(SALU_CYCLE_3) | instskip(NEXT) | instid1(SALU_CYCLE_3)
	s_mul_f32 s15, s0, 0x2f800000
	s_trunc_f32 s15, s15
	s_delay_alu instid0(SALU_CYCLE_3) | instskip(SKIP_1) | instid1(SALU_CYCLE_2)
	s_fmamk_f32 s0, s15, 0xcf800000, s0
	s_cvt_u32_f32 s45, s15
	s_cvt_u32_f32 s44, s0
	s_delay_alu instid0(SALU_CYCLE_3) | instskip(NEXT) | instid1(SALU_CYCLE_1)
	s_mul_u64 s[48:49], s[46:47], s[44:45]
	s_mul_hi_u32 s53, s44, s49
	s_mul_i32 s52, s44, s49
	s_mul_hi_u32 s50, s44, s48
	s_mul_i32 s15, s45, s48
	s_add_nc_u64 s[52:53], s[50:51], s[52:53]
	s_mul_hi_u32 s0, s45, s48
	s_mul_hi_u32 s54, s45, s49
	s_add_co_u32 s15, s52, s15
	s_add_co_ci_u32 s50, s53, s0
	s_mul_i32 s48, s45, s49
	s_add_co_ci_u32 s49, s54, 0
	s_delay_alu instid0(SALU_CYCLE_1) | instskip(NEXT) | instid1(SALU_CYCLE_1)
	s_add_nc_u64 s[48:49], s[50:51], s[48:49]
	s_add_co_u32 s44, s44, s48
	s_cselect_b32 s0, -1, 0
	s_delay_alu instid0(SALU_CYCLE_1) | instskip(SKIP_1) | instid1(SALU_CYCLE_1)
	s_cmp_lg_u32 s0, 0
	s_add_co_ci_u32 s45, s45, s49
	s_mul_u64 s[46:47], s[46:47], s[44:45]
	s_delay_alu instid0(SALU_CYCLE_1)
	s_mul_hi_u32 s49, s44, s47
	s_mul_i32 s48, s44, s47
	s_mul_hi_u32 s50, s44, s46
	s_mul_i32 s15, s45, s46
	s_add_nc_u64 s[48:49], s[50:51], s[48:49]
	s_mul_hi_u32 s0, s45, s46
	s_mul_hi_u32 s52, s45, s47
	s_add_co_u32 s15, s48, s15
	s_add_co_ci_u32 s50, s49, s0
	s_mul_i32 s46, s45, s47
	s_add_co_ci_u32 s47, s52, 0
	s_delay_alu instid0(SALU_CYCLE_1) | instskip(NEXT) | instid1(SALU_CYCLE_1)
	s_add_nc_u64 s[46:47], s[50:51], s[46:47]
	s_add_co_u32 s0, s44, s46
	s_cselect_b32 s15, -1, 0
	v_mul_hi_u32 v26, v18, s0
	s_cmp_lg_u32 s15, 0
	s_add_co_ci_u32 s50, s45, s47
	s_mov_b64 s[44:45], 0xffffffff
	v_mul_u64_e32 v[22:23], s[50:51], v[18:19]
	s_and_b64 s[44:45], s[0:1], s[44:45]
	v_mul_u64_e32 v[24:25], s[50:51], v[20:21]
	v_mul_u64_e32 v[16:17], s[44:45], v[20:21]
	s_delay_alu instid0(VALU_DEP_3) | instskip(NEXT) | instid1(VALU_DEP_1)
	v_add_nc_u64_e32 v[22:23], v[26:27], v[22:23]
	v_add_co_u32 v1, vcc_lo, v22, v16
	s_delay_alu instid0(VALU_DEP_2) | instskip(SKIP_1) | instid1(VALU_DEP_1)
	v_add_co_ci_u32_e32 v10, vcc_lo, v23, v17, vcc_lo
	v_add_co_ci_u32_e32 v25, vcc_lo, 0, v25, vcc_lo
	v_add_nc_u64_e32 v[10:11], v[10:11], v[24:25]
	s_delay_alu instid0(VALU_DEP_1) | instskip(NEXT) | instid1(VALU_DEP_1)
	v_mul_u64_e32 v[16:17], s[42:43], v[10:11]
	v_sub_nc_u32_e32 v1, v20, v17
	s_delay_alu instid0(VALU_DEP_2) | instskip(NEXT) | instid1(VALU_DEP_1)
	v_sub_co_u32 v3, vcc_lo, v18, v16
	v_sub_co_ci_u32_e64 v13, null, v20, v17, vcc_lo
	s_delay_alu instid0(VALU_DEP_3) | instskip(NEXT) | instid1(VALU_DEP_3)
	v_subrev_co_ci_u32_e64 v1, null, s43, v1, vcc_lo
	v_sub_co_u32 v5, s0, v3, s42
	v_add_nc_u64_e32 v[16:17], 2, v[10:11]
	s_delay_alu instid0(VALU_DEP_3) | instskip(NEXT) | instid1(VALU_DEP_3)
	v_subrev_co_ci_u32_e64 v1, null, 0, v1, s0
	v_cmp_le_u32_e32 vcc_lo, s42, v5
	v_add_nc_u64_e32 v[18:19], 1, v[10:11]
	v_cndmask_b32_e64 v5, 0, -1, vcc_lo
	s_delay_alu instid0(VALU_DEP_4)
	v_cmp_le_u32_e32 vcc_lo, s43, v1
	v_cndmask_b32_e64 v15, 0, -1, vcc_lo
	v_cmp_le_u32_e32 vcc_lo, s42, v3
	v_cndmask_b32_e64 v3, 0, -1, vcc_lo
	;; [unrolled: 2-line block ×3, first 2 shown]
	v_cmp_eq_u32_e32 vcc_lo, s43, v1
	v_cndmask_b32_e32 v1, v15, v5, vcc_lo
	v_cmp_eq_u32_e32 vcc_lo, s43, v13
	s_delay_alu instid0(VALU_DEP_4) | instskip(NEXT) | instid1(VALU_DEP_3)
	v_cndmask_b32_e32 v3, v20, v3, vcc_lo
	v_cmp_ne_u32_e32 vcc_lo, 0, v1
	s_delay_alu instid0(VALU_DEP_2) | instskip(SKIP_1) | instid1(VALU_DEP_1)
	v_cmp_ne_u32_e64 s0, 0, v3
	v_dual_cndmask_b32 v1, v19, v17, vcc_lo :: v_dual_cndmask_b32 v3, v18, v16, vcc_lo
	v_dual_cndmask_b32 v1, v11, v1, s0 :: v_dual_cndmask_b32 v3, v10, v3, s0
	s_delay_alu instid0(VALU_DEP_1) | instskip(NEXT) | instid1(VALU_DEP_2)
	v_dual_mov_b32 v13, v12 :: v_dual_bitop2_b32 v11, v1, v12 bitop3:0x14
	v_xor_b32_e32 v10, v3, v12
	s_delay_alu instid0(VALU_DEP_1)
	v_sub_nc_u64_e32 v[12:13], v[10:11], v[12:13]
.LBB3_22:
	s_and_not1_saveexec_b32 s0, s1
	s_cbranch_execz .LBB3_24
; %bb.23:
	v_cvt_f32_u32_e32 v1, s12
	s_sub_co_i32 s1, 0, s12
	v_mov_b32_e32 v13, 0
	s_delay_alu instid0(VALU_DEP_2) | instskip(SKIP_1) | instid1(TRANS32_DEP_1)
	v_rcp_iflag_f32_e32 v1, v1
	v_nop
	v_mul_f32_e32 v1, 0x4f7ffffe, v1
	s_delay_alu instid0(VALU_DEP_1) | instskip(NEXT) | instid1(VALU_DEP_1)
	v_cvt_u32_f32_e32 v1, v1
	v_mul_lo_u32 v3, s1, v1
	s_delay_alu instid0(VALU_DEP_1) | instskip(NEXT) | instid1(VALU_DEP_1)
	v_mul_hi_u32 v3, v1, v3
	v_add_nc_u32_e32 v1, v1, v3
	s_delay_alu instid0(VALU_DEP_1) | instskip(NEXT) | instid1(VALU_DEP_1)
	v_mul_hi_u32 v1, v6, v1
	v_mul_lo_u32 v3, v1, s12
	s_delay_alu instid0(VALU_DEP_1) | instskip(NEXT) | instid1(VALU_DEP_1)
	v_sub_nc_u32_e32 v3, v6, v3
	v_subrev_nc_u32_e32 v10, s12, v3
	v_cmp_le_u32_e32 vcc_lo, s12, v3
	s_delay_alu instid0(VALU_DEP_2) | instskip(NEXT) | instid1(VALU_DEP_1)
	v_dual_add_nc_u32 v5, 1, v1 :: v_dual_cndmask_b32 v3, v3, v10, vcc_lo
	v_cndmask_b32_e32 v1, v1, v5, vcc_lo
	s_delay_alu instid0(VALU_DEP_2) | instskip(NEXT) | instid1(VALU_DEP_2)
	v_cmp_le_u32_e32 vcc_lo, s12, v3
	v_add_nc_u32_e32 v5, 1, v1
	s_delay_alu instid0(VALU_DEP_1)
	v_cndmask_b32_e32 v12, v1, v5, vcc_lo
.LBB3_24:
	s_or_b32 exec_lo, exec_lo, s0
	v_mul_u64_e32 v[16:17], s[12:13], v[8:9]
	s_delay_alu instid0(VALU_DEP_2) | instskip(SKIP_2) | instid1(VALU_DEP_2)
	v_min_i64 v[10:11], v[12:13], s[2:3]
	s_mov_b32 s14, 0
	s_mov_b32 s15, exec_lo
	v_add_nc_u64_e32 v[12:13], s[10:11], v[16:17]
	v_cmp_gt_i64_e32 vcc_lo, v[16:17], v[6:7]
	s_delay_alu instid0(VALU_DEP_2) | instskip(SKIP_2) | instid1(SALU_CYCLE_1)
	v_cmp_ge_i64_e64 s0, v[6:7], v[12:13]
	v_mov_b32_e32 v13, s14
	s_or_b32 s0, vcc_lo, s0
	v_cndmask_b32_e64 v12, 0, 1, s0
	s_delay_alu instid0(VALU_DEP_1) | instskip(NEXT) | instid1(VALU_DEP_1)
	v_add_nc_u64_e32 v[12:13], v[8:9], v[12:13]
	v_cmpx_le_i64_e64 v[12:13], v[10:11]
	s_cbranch_execz .LBB3_27
; %bb.25:
	global_load_b64 v[8:9], v2, s[4:5]
	v_mul_u64_e32 v[16:17], s[12:13], v[12:13]
	v_mov_b32_e32 v3, 0
	s_mul_u64 s[0:1], s[12:13], s[18:19]
	s_lshl_b64 s[42:43], s[16:17], 3
	s_lshl_b64 s[0:1], s[0:1], 3
	s_delay_alu instid0(VALU_DEP_1) | instskip(SKIP_3) | instid1(VALU_DEP_4)
	v_mov_b32_e32 v5, v3
	s_wait_xcnt 0x0
	v_add_nc_u64_e32 v[2:3], s[4:5], v[2:3]
	s_sub_nc_u64 s[0:1], s[42:43], s[0:1]
	v_sub_nc_u64_e32 v[6:7], v[6:7], v[16:17]
	v_mul_u64_e32 v[16:17], s[16:17], v[12:13]
	s_delay_alu instid0(VALU_DEP_2) | instskip(NEXT) | instid1(VALU_DEP_2)
	v_mul_u64_e32 v[6:7], s[18:19], v[6:7]
	v_lshlrev_b64_e32 v[16:17], 3, v[16:17]
	s_delay_alu instid0(VALU_DEP_1) | instskip(NEXT) | instid1(VALU_DEP_1)
	v_lshl_add_u64 v[6:7], v[6:7], 3, v[16:17]
	v_add_nc_u64_e32 v[6:7], v[6:7], v[4:5]
	v_add_nc_u64_e32 v[4:5], -1, v[12:13]
	s_delay_alu instid0(VALU_DEP_2)
	v_add_nc_u64_e32 v[6:7], s[6:7], v[6:7]
.LBB3_26:                               ; =>This Inner Loop Header: Depth=1
	global_load_b64 v[12:13], v[6:7], off
	v_add_nc_u64_e32 v[4:5], 1, v[4:5]
	s_wait_xcnt 0x0
	v_add_nc_u64_e32 v[6:7], s[0:1], v[6:7]
	s_delay_alu instid0(VALU_DEP_2)
	v_cmp_ge_i64_e32 vcc_lo, v[4:5], v[10:11]
	s_or_b32 s14, vcc_lo, s14
	s_wait_loadcnt 0x0
	v_add_nc_u64_e32 v[8:9], v[12:13], v[8:9]
	global_store_b64 v[2:3], v[8:9], off
	s_wait_xcnt 0x0
	s_and_not1_b32 exec_lo, exec_lo, s14
	s_cbranch_execnz .LBB3_26
.LBB3_27:
	s_or_b32 exec_lo, exec_lo, s15
	v_add_nc_u32_e32 v0, 0x100, v0
	s_or_b32 exec_lo, exec_lo, s29
	s_delay_alu instid0(SALU_CYCLE_1) | instskip(NEXT) | instid1(VALU_DEP_1)
	s_mov_b32 s29, exec_lo
	v_cmpx_gt_i32_e64 s31, v0
	s_cbranch_execz .LBB3_2
.LBB3_28:
	v_cmp_ne_u32_e32 vcc_lo, 1, v14
	s_cbranch_vccnz .LBB3_35
; %bb.29:
	v_dual_mov_b32 v3, 0 :: v_dual_mov_b32 v4, 0
	v_mov_b32_e32 v2, 0
	s_and_not1_b32 vcc_lo, exec_lo, s33
	s_cbranch_vccnz .LBB3_34
; %bb.30:
	v_dual_mov_b32 v2, 0 :: v_dual_mov_b32 v1, v0
	v_dual_mov_b32 v4, 0 :: v_dual_mov_b32 v3, 0
	s_add_co_i32 s14, s22, 1
	s_mov_b64 s[0:1], 0xffffffffffffffe8
	s_and_b32 s14, s14, 30
	s_add_nc_u64 s[0:1], s[40:41], s[0:1]
.LBB3_31:                               ; =>This Inner Loop Header: Depth=1
	s_clause 0x1
	s_load_b128 s[44:47], s[0:1], 0x1c
	s_load_b64 s[42:43], s[0:1], 0x2c
	s_add_co_i32 s14, s14, -2
	s_delay_alu instid0(SALU_CYCLE_1) | instskip(SKIP_2) | instid1(VALU_DEP_1)
	s_cmp_eq_u32 s14, 0
	s_wait_kmcnt 0x0
	v_mul_hi_u32 v5, s45, v1
	v_add_nc_u32_e32 v5, v1, v5
	s_delay_alu instid0(VALU_DEP_1) | instskip(NEXT) | instid1(VALU_DEP_1)
	v_lshrrev_b32_e32 v5, s46, v5
	v_mul_hi_u32 v6, s42, v5
	v_mul_lo_u32 v7, v5, s44
	s_clause 0x1
	s_load_b128 s[48:51], s[0:1], 0xdc
	s_load_b64 s[44:45], s[0:1], 0xec
	s_wait_xcnt 0x0
	s_add_nc_u64 s[0:1], s[0:1], 24
	s_delay_alu instid0(VALU_DEP_2) | instskip(NEXT) | instid1(VALU_DEP_1)
	v_add_nc_u32_e32 v6, v5, v6
	v_dual_sub_nc_u32 v7, v1, v7 :: v_dual_lshrrev_b32 v1, s43, v6
	s_wait_kmcnt 0x0
	s_delay_alu instid0(VALU_DEP_1) | instskip(NEXT) | instid1(VALU_DEP_2)
	v_mad_u32 v2, v7, s48, v2
	v_mul_lo_u32 v6, v1, s47
	v_mad_u32 v3, v7, s50, v3
	v_mad_u32 v4, v7, s49, v4
	s_delay_alu instid0(VALU_DEP_3) | instskip(NEXT) | instid1(VALU_DEP_1)
	v_sub_nc_u32_e32 v5, v5, v6
	v_mad_u32 v2, v5, s51, v2
	s_delay_alu instid0(VALU_DEP_4) | instskip(NEXT) | instid1(VALU_DEP_4)
	v_mad_u32 v3, v5, s45, v3
	v_mad_u32 v4, v5, s44, v4
	s_cbranch_scc0 .LBB3_31
; %bb.32:
	s_bitcmp1_b32 s22, 0
	s_cselect_b32 s14, -1, 0
	s_delay_alu instid0(SALU_CYCLE_1)
	s_and_b32 vcc_lo, exec_lo, s14
	s_cbranch_vccnz .LBB3_34
; %bb.33:
	s_clause 0x1
	s_load_b96 s[44:46], s[0:1], 0x1c
	s_load_b96 s[48:50], s[0:1], 0xdc
	s_wait_kmcnt 0x0
	v_mul_hi_u32 v5, s45, v1
	s_delay_alu instid0(VALU_DEP_1) | instskip(NEXT) | instid1(VALU_DEP_1)
	v_add_nc_u32_e32 v5, v1, v5
	v_lshrrev_b32_e32 v5, s46, v5
	s_delay_alu instid0(VALU_DEP_1) | instskip(NEXT) | instid1(VALU_DEP_1)
	v_mul_lo_u32 v5, v5, s44
	v_sub_nc_u32_e32 v1, v1, v5
	s_delay_alu instid0(VALU_DEP_1)
	v_mad_u32 v2, v1, s48, v2
	v_mad_u32 v4, v1, s49, v4
	;; [unrolled: 1-line block ×3, first 2 shown]
.LBB3_34:
	s_cbranch_execz .LBB3_36
	s_branch .LBB3_38
.LBB3_35:
                                        ; implicit-def: $vgpr3
                                        ; implicit-def: $vgpr4
                                        ; implicit-def: $vgpr2
.LBB3_36:
	v_mov_b32_e32 v1, 0
	s_and_not1_b32 vcc_lo, exec_lo, s20
	s_delay_alu instid0(VALU_DEP_1) | instskip(NEXT) | instid1(VALU_DEP_1)
	v_mul_u64_e32 v[2:3], s[36:37], v[0:1]
	v_add_nc_u32_e32 v2, v0, v3
	s_delay_alu instid0(VALU_DEP_1) | instskip(NEXT) | instid1(VALU_DEP_1)
	v_lshrrev_b32_e32 v6, s23, v2
	v_mul_lo_u32 v2, v6, s21
	s_delay_alu instid0(VALU_DEP_1) | instskip(NEXT) | instid1(VALU_DEP_1)
	v_sub_nc_u32_e32 v4, v0, v2
	v_mul_lo_u32 v2, v4, s24
	v_mul_lo_u32 v3, v4, s26
	;; [unrolled: 1-line block ×3, first 2 shown]
	s_cbranch_vccnz .LBB3_38
; %bb.37:
	v_mov_b32_e32 v7, v1
	s_delay_alu instid0(VALU_DEP_1) | instskip(NEXT) | instid1(VALU_DEP_1)
	v_mul_u64_e32 v[8:9], s[38:39], v[6:7]
	v_add_nc_u32_e32 v1, v6, v9
	s_delay_alu instid0(VALU_DEP_1) | instskip(NEXT) | instid1(VALU_DEP_1)
	v_lshrrev_b32_e32 v1, s30, v1
	v_mul_lo_u32 v1, v1, s28
	s_delay_alu instid0(VALU_DEP_1) | instskip(NEXT) | instid1(VALU_DEP_1)
	v_sub_nc_u32_e32 v1, v6, v1
	v_mad_u32 v2, v1, s27, v2
	v_mad_u32 v4, v1, s34, v4
	;; [unrolled: 1-line block ×3, first 2 shown]
.LBB3_38:
	global_load_b64 v[6:7], v3, s[8:9]
	v_mov_b64_e32 v[8:9], 0
	s_mov_b32 s1, exec_lo
	s_wait_loadcnt 0x0
	v_cmpx_lt_i64_e64 s[10:11], v[6:7]
	s_cbranch_execz .LBB3_44
; %bb.39:
	v_sub_nc_u64_e64 v[12:13], v[6:7], s[10:11]
                                        ; implicit-def: $vgpr8_vgpr9
	s_mov_b32 s0, exec_lo
	s_delay_alu instid0(VALU_DEP_1) | instskip(NEXT) | instid1(VALU_DEP_1)
	v_dual_mov_b32 v10, 0 :: v_dual_bitop2_b32 v11, s13, v13 bitop3:0x54
	v_cmpx_ne_u64_e32 0, v[10:11]
	s_xor_b32 s44, exec_lo, s0
	s_cbranch_execz .LBB3_41
; %bb.40:
	s_ashr_i32 s14, s13, 31
	s_mov_b32 s53, 0
	s_mov_b32 s15, s14
	v_dual_mov_b32 v17, v10 :: v_dual_ashrrev_i32 v8, 31, v13
	s_add_nc_u64 s[42:43], s[12:13], s[14:15]
	v_mov_b32_e32 v19, v10
	s_xor_b64 s[42:43], s[42:43], s[14:15]
	s_delay_alu instid0(VALU_DEP_2)
	v_mov_b32_e32 v9, v8
	s_cvt_f32_u32 s0, s42
	s_cvt_f32_u32 s15, s43
	s_sub_nc_u64 s[48:49], 0, s[42:43]
	v_mov_b32_e32 v25, v10
	v_add_nc_u64_e32 v[12:13], v[12:13], v[8:9]
	s_fmamk_f32 s0, s15, 0x4f800000, s0
	v_mov_b32_e32 v11, v10
	s_delay_alu instid0(SALU_CYCLE_2) | instskip(NEXT) | instid1(VALU_DEP_2)
	v_s_rcp_f32 s0, s0
	v_xor_b32_e32 v16, v12, v8
	s_delay_alu instid0(VALU_DEP_3) | instskip(SKIP_1) | instid1(TRANS32_DEP_1)
	v_xor_b32_e32 v18, v13, v8
	v_xor_b32_e32 v8, s14, v8
	s_mul_f32 s0, s0, 0x5f7ffffc
	s_delay_alu instid0(SALU_CYCLE_3) | instskip(NEXT) | instid1(SALU_CYCLE_3)
	s_mul_f32 s15, s0, 0x2f800000
	s_trunc_f32 s15, s15
	s_delay_alu instid0(SALU_CYCLE_3) | instskip(SKIP_1) | instid1(SALU_CYCLE_2)
	s_fmamk_f32 s0, s15, 0xcf800000, s0
	s_cvt_u32_f32 s47, s15
	s_cvt_u32_f32 s46, s0
	s_delay_alu instid0(SALU_CYCLE_3) | instskip(NEXT) | instid1(SALU_CYCLE_1)
	s_mul_u64 s[50:51], s[48:49], s[46:47]
	s_mul_hi_u32 s55, s46, s51
	s_mul_i32 s54, s46, s51
	s_mul_hi_u32 s52, s46, s50
	s_mul_i32 s15, s47, s50
	s_add_nc_u64 s[54:55], s[52:53], s[54:55]
	s_mul_hi_u32 s0, s47, s50
	s_mul_hi_u32 s45, s47, s51
	s_add_co_u32 s15, s54, s15
	s_add_co_ci_u32 s52, s55, s0
	s_mul_i32 s50, s47, s51
	s_add_co_ci_u32 s51, s45, 0
	s_delay_alu instid0(SALU_CYCLE_1) | instskip(NEXT) | instid1(SALU_CYCLE_1)
	s_add_nc_u64 s[50:51], s[52:53], s[50:51]
	s_add_co_u32 s46, s46, s50
	s_cselect_b32 s0, -1, 0
	s_delay_alu instid0(SALU_CYCLE_1) | instskip(SKIP_1) | instid1(SALU_CYCLE_1)
	s_cmp_lg_u32 s0, 0
	s_add_co_ci_u32 s47, s47, s51
	s_mul_u64 s[48:49], s[48:49], s[46:47]
	s_delay_alu instid0(SALU_CYCLE_1)
	s_mul_hi_u32 s51, s46, s49
	s_mul_i32 s50, s46, s49
	s_mul_hi_u32 s52, s46, s48
	s_mul_i32 s15, s47, s48
	s_add_nc_u64 s[50:51], s[52:53], s[50:51]
	s_mul_hi_u32 s0, s47, s48
	s_mul_hi_u32 s45, s47, s49
	s_add_co_u32 s15, s50, s15
	s_add_co_ci_u32 s52, s51, s0
	s_mul_i32 s48, s47, s49
	s_add_co_ci_u32 s49, s45, 0
	s_delay_alu instid0(SALU_CYCLE_1) | instskip(NEXT) | instid1(SALU_CYCLE_1)
	s_add_nc_u64 s[48:49], s[52:53], s[48:49]
	s_add_co_u32 s0, s46, s48
	s_cselect_b32 s15, -1, 0
	v_mul_hi_u32 v24, v16, s0
	s_cmp_lg_u32 s15, 0
	s_add_co_ci_u32 s52, s47, s49
	s_mov_b64 s[46:47], 0xffffffff
	v_mul_u64_e32 v[20:21], s[52:53], v[16:17]
	s_and_b64 s[46:47], s[0:1], s[46:47]
	v_mul_u64_e32 v[22:23], s[52:53], v[18:19]
	v_mul_u64_e32 v[12:13], s[46:47], v[18:19]
	s_delay_alu instid0(VALU_DEP_3) | instskip(NEXT) | instid1(VALU_DEP_1)
	v_add_nc_u64_e32 v[20:21], v[24:25], v[20:21]
	v_add_co_u32 v1, vcc_lo, v20, v12
	s_delay_alu instid0(VALU_DEP_2) | instskip(SKIP_1) | instid1(VALU_DEP_1)
	v_add_co_ci_u32_e32 v10, vcc_lo, v21, v13, vcc_lo
	v_add_co_ci_u32_e32 v23, vcc_lo, 0, v23, vcc_lo
	v_add_nc_u64_e32 v[10:11], v[10:11], v[22:23]
	s_delay_alu instid0(VALU_DEP_1) | instskip(NEXT) | instid1(VALU_DEP_1)
	v_mul_u64_e32 v[12:13], s[42:43], v[10:11]
	v_sub_nc_u32_e32 v1, v18, v13
	s_delay_alu instid0(VALU_DEP_2) | instskip(NEXT) | instid1(VALU_DEP_1)
	v_sub_co_u32 v3, vcc_lo, v16, v12
	v_sub_co_ci_u32_e64 v9, null, v18, v13, vcc_lo
	s_delay_alu instid0(VALU_DEP_3) | instskip(NEXT) | instid1(VALU_DEP_3)
	v_subrev_co_ci_u32_e64 v1, null, s43, v1, vcc_lo
	v_sub_co_u32 v5, s0, v3, s42
	v_add_nc_u64_e32 v[16:17], 1, v[10:11]
	s_delay_alu instid0(VALU_DEP_3) | instskip(NEXT) | instid1(VALU_DEP_3)
	v_subrev_co_ci_u32_e64 v1, null, 0, v1, s0
	v_cmp_le_u32_e32 vcc_lo, s42, v5
	v_cndmask_b32_e64 v5, 0, -1, vcc_lo
	s_delay_alu instid0(VALU_DEP_3)
	v_cmp_le_u32_e32 vcc_lo, s43, v1
	v_cndmask_b32_e64 v12, 0, -1, vcc_lo
	v_cmp_le_u32_e32 vcc_lo, s42, v3
	v_cndmask_b32_e64 v3, 0, -1, vcc_lo
	;; [unrolled: 2-line block ×3, first 2 shown]
	v_cmp_eq_u32_e32 vcc_lo, s43, v1
	v_cndmask_b32_e32 v1, v12, v5, vcc_lo
	v_cmp_eq_u32_e32 vcc_lo, s43, v9
	v_add_nc_u64_e32 v[12:13], 2, v[10:11]
	v_cndmask_b32_e32 v3, v15, v3, vcc_lo
	s_delay_alu instid0(VALU_DEP_4) | instskip(NEXT) | instid1(VALU_DEP_2)
	v_cmp_ne_u32_e32 vcc_lo, 0, v1
	v_cmp_ne_u32_e64 s0, 0, v3
	s_delay_alu instid0(VALU_DEP_4) | instskip(NEXT) | instid1(VALU_DEP_1)
	v_dual_cndmask_b32 v1, v17, v13, vcc_lo :: v_dual_cndmask_b32 v3, v16, v12, vcc_lo
                                        ; implicit-def: $vgpr12_vgpr13
	v_dual_cndmask_b32 v1, v11, v1, s0 :: v_dual_cndmask_b32 v3, v10, v3, s0
	s_delay_alu instid0(VALU_DEP_1) | instskip(NEXT) | instid1(VALU_DEP_2)
	v_dual_mov_b32 v9, v8 :: v_dual_bitop2_b32 v11, v1, v8 bitop3:0x14
	v_xor_b32_e32 v10, v3, v8
	s_delay_alu instid0(VALU_DEP_1)
	v_sub_nc_u64_e32 v[8:9], v[10:11], v[8:9]
.LBB3_41:
	s_and_not1_saveexec_b32 s0, s44
	s_cbranch_execz .LBB3_43
; %bb.42:
	v_cvt_f32_u32_e32 v1, s12
	s_sub_co_i32 s14, 0, s12
	v_mov_b32_e32 v9, 0
	s_delay_alu instid0(VALU_DEP_2) | instskip(SKIP_1) | instid1(TRANS32_DEP_1)
	v_rcp_iflag_f32_e32 v1, v1
	v_nop
	v_mul_f32_e32 v1, 0x4f7ffffe, v1
	s_delay_alu instid0(VALU_DEP_1) | instskip(NEXT) | instid1(VALU_DEP_1)
	v_cvt_u32_f32_e32 v1, v1
	v_mul_lo_u32 v3, s14, v1
	s_delay_alu instid0(VALU_DEP_1) | instskip(NEXT) | instid1(VALU_DEP_1)
	v_mul_hi_u32 v3, v1, v3
	v_add_nc_u32_e32 v1, v1, v3
	s_delay_alu instid0(VALU_DEP_1) | instskip(NEXT) | instid1(VALU_DEP_1)
	v_mul_hi_u32 v1, v12, v1
	v_mul_lo_u32 v3, v1, s12
	s_delay_alu instid0(VALU_DEP_1) | instskip(NEXT) | instid1(VALU_DEP_1)
	v_sub_nc_u32_e32 v3, v12, v3
	v_subrev_nc_u32_e32 v8, s12, v3
	v_cmp_le_u32_e32 vcc_lo, s12, v3
	s_delay_alu instid0(VALU_DEP_2) | instskip(NEXT) | instid1(VALU_DEP_1)
	v_dual_add_nc_u32 v5, 1, v1 :: v_dual_cndmask_b32 v3, v3, v8, vcc_lo
	v_cndmask_b32_e32 v1, v1, v5, vcc_lo
	s_delay_alu instid0(VALU_DEP_2) | instskip(NEXT) | instid1(VALU_DEP_2)
	v_cmp_le_u32_e32 vcc_lo, s12, v3
	v_add_nc_u32_e32 v5, 1, v1
	s_delay_alu instid0(VALU_DEP_1)
	v_cndmask_b32_e32 v8, v1, v5, vcc_lo
.LBB3_43:
	s_or_b32 exec_lo, exec_lo, s0
.LBB3_44:
	s_delay_alu instid0(SALU_CYCLE_1) | instskip(SKIP_2) | instid1(VALU_DEP_1)
	s_or_b32 exec_lo, exec_lo, s1
	v_dual_mov_b32 v10, 0 :: v_dual_bitop2_b32 v11, s13, v7 bitop3:0x54
                                        ; implicit-def: $vgpr12_vgpr13
	s_mov_b32 s0, exec_lo
	v_cmpx_ne_u64_e32 0, v[10:11]
	s_xor_b32 s1, exec_lo, s0
	s_cbranch_execz .LBB3_46
; %bb.45:
	s_ashr_i32 s14, s13, 31
	s_mov_b32 s51, 0
	s_mov_b32 s15, s14
	v_dual_mov_b32 v19, v10 :: v_dual_ashrrev_i32 v12, 31, v7
	s_add_nc_u64 s[42:43], s[12:13], s[14:15]
	v_mov_b32_e32 v21, v10
	s_xor_b64 s[42:43], s[42:43], s[14:15]
	s_delay_alu instid0(VALU_DEP_2)
	v_mov_b32_e32 v13, v12
	s_cvt_f32_u32 s0, s42
	s_cvt_f32_u32 s15, s43
	s_sub_nc_u64 s[46:47], 0, s[42:43]
	v_mov_b32_e32 v27, v10
	v_add_nc_u64_e32 v[16:17], v[6:7], v[12:13]
	s_fmamk_f32 s0, s15, 0x4f800000, s0
	v_mov_b32_e32 v11, v10
	s_delay_alu instid0(SALU_CYCLE_2) | instskip(NEXT) | instid1(VALU_DEP_2)
	v_s_rcp_f32 s0, s0
	v_xor_b32_e32 v18, v16, v12
	s_delay_alu instid0(VALU_DEP_3) | instskip(SKIP_1) | instid1(TRANS32_DEP_1)
	v_xor_b32_e32 v20, v17, v12
	v_xor_b32_e32 v12, s14, v12
	s_mul_f32 s0, s0, 0x5f7ffffc
	s_delay_alu instid0(SALU_CYCLE_3) | instskip(NEXT) | instid1(SALU_CYCLE_3)
	s_mul_f32 s15, s0, 0x2f800000
	s_trunc_f32 s15, s15
	s_delay_alu instid0(SALU_CYCLE_3) | instskip(SKIP_1) | instid1(SALU_CYCLE_2)
	s_fmamk_f32 s0, s15, 0xcf800000, s0
	s_cvt_u32_f32 s45, s15
	s_cvt_u32_f32 s44, s0
	s_delay_alu instid0(SALU_CYCLE_3) | instskip(NEXT) | instid1(SALU_CYCLE_1)
	s_mul_u64 s[48:49], s[46:47], s[44:45]
	s_mul_hi_u32 s53, s44, s49
	s_mul_i32 s52, s44, s49
	s_mul_hi_u32 s50, s44, s48
	s_mul_i32 s15, s45, s48
	s_add_nc_u64 s[52:53], s[50:51], s[52:53]
	s_mul_hi_u32 s0, s45, s48
	s_mul_hi_u32 s54, s45, s49
	s_add_co_u32 s15, s52, s15
	s_add_co_ci_u32 s50, s53, s0
	s_mul_i32 s48, s45, s49
	s_add_co_ci_u32 s49, s54, 0
	s_delay_alu instid0(SALU_CYCLE_1) | instskip(NEXT) | instid1(SALU_CYCLE_1)
	s_add_nc_u64 s[48:49], s[50:51], s[48:49]
	s_add_co_u32 s44, s44, s48
	s_cselect_b32 s0, -1, 0
	s_delay_alu instid0(SALU_CYCLE_1) | instskip(SKIP_1) | instid1(SALU_CYCLE_1)
	s_cmp_lg_u32 s0, 0
	s_add_co_ci_u32 s45, s45, s49
	s_mul_u64 s[46:47], s[46:47], s[44:45]
	s_delay_alu instid0(SALU_CYCLE_1)
	s_mul_hi_u32 s49, s44, s47
	s_mul_i32 s48, s44, s47
	s_mul_hi_u32 s50, s44, s46
	s_mul_i32 s15, s45, s46
	s_add_nc_u64 s[48:49], s[50:51], s[48:49]
	s_mul_hi_u32 s0, s45, s46
	s_mul_hi_u32 s52, s45, s47
	s_add_co_u32 s15, s48, s15
	s_add_co_ci_u32 s50, s49, s0
	s_mul_i32 s46, s45, s47
	s_add_co_ci_u32 s47, s52, 0
	s_delay_alu instid0(SALU_CYCLE_1) | instskip(NEXT) | instid1(SALU_CYCLE_1)
	s_add_nc_u64 s[46:47], s[50:51], s[46:47]
	s_add_co_u32 s0, s44, s46
	s_cselect_b32 s15, -1, 0
	v_mul_hi_u32 v26, v18, s0
	s_cmp_lg_u32 s15, 0
	s_add_co_ci_u32 s50, s45, s47
	s_mov_b64 s[44:45], 0xffffffff
	v_mul_u64_e32 v[22:23], s[50:51], v[18:19]
	s_and_b64 s[44:45], s[0:1], s[44:45]
	v_mul_u64_e32 v[24:25], s[50:51], v[20:21]
	v_mul_u64_e32 v[16:17], s[44:45], v[20:21]
	s_delay_alu instid0(VALU_DEP_3) | instskip(NEXT) | instid1(VALU_DEP_1)
	v_add_nc_u64_e32 v[22:23], v[26:27], v[22:23]
	v_add_co_u32 v1, vcc_lo, v22, v16
	s_delay_alu instid0(VALU_DEP_2) | instskip(SKIP_1) | instid1(VALU_DEP_1)
	v_add_co_ci_u32_e32 v10, vcc_lo, v23, v17, vcc_lo
	v_add_co_ci_u32_e32 v25, vcc_lo, 0, v25, vcc_lo
	v_add_nc_u64_e32 v[10:11], v[10:11], v[24:25]
	s_delay_alu instid0(VALU_DEP_1) | instskip(NEXT) | instid1(VALU_DEP_1)
	v_mul_u64_e32 v[16:17], s[42:43], v[10:11]
	v_sub_nc_u32_e32 v1, v20, v17
	s_delay_alu instid0(VALU_DEP_2) | instskip(NEXT) | instid1(VALU_DEP_1)
	v_sub_co_u32 v3, vcc_lo, v18, v16
	v_sub_co_ci_u32_e64 v13, null, v20, v17, vcc_lo
	s_delay_alu instid0(VALU_DEP_3) | instskip(NEXT) | instid1(VALU_DEP_3)
	v_subrev_co_ci_u32_e64 v1, null, s43, v1, vcc_lo
	v_sub_co_u32 v5, s0, v3, s42
	v_add_nc_u64_e32 v[16:17], 2, v[10:11]
	s_delay_alu instid0(VALU_DEP_3) | instskip(NEXT) | instid1(VALU_DEP_3)
	v_subrev_co_ci_u32_e64 v1, null, 0, v1, s0
	v_cmp_le_u32_e32 vcc_lo, s42, v5
	v_add_nc_u64_e32 v[18:19], 1, v[10:11]
	v_cndmask_b32_e64 v5, 0, -1, vcc_lo
	s_delay_alu instid0(VALU_DEP_4)
	v_cmp_le_u32_e32 vcc_lo, s43, v1
	v_cndmask_b32_e64 v15, 0, -1, vcc_lo
	v_cmp_le_u32_e32 vcc_lo, s42, v3
	v_cndmask_b32_e64 v3, 0, -1, vcc_lo
	v_cmp_le_u32_e32 vcc_lo, s43, v13
	v_cndmask_b32_e64 v20, 0, -1, vcc_lo
	v_cmp_eq_u32_e32 vcc_lo, s43, v1
	v_cndmask_b32_e32 v1, v15, v5, vcc_lo
	v_cmp_eq_u32_e32 vcc_lo, s43, v13
	s_delay_alu instid0(VALU_DEP_4) | instskip(NEXT) | instid1(VALU_DEP_3)
	v_cndmask_b32_e32 v3, v20, v3, vcc_lo
	v_cmp_ne_u32_e32 vcc_lo, 0, v1
	s_delay_alu instid0(VALU_DEP_2) | instskip(SKIP_1) | instid1(VALU_DEP_1)
	v_cmp_ne_u32_e64 s0, 0, v3
	v_dual_cndmask_b32 v1, v19, v17, vcc_lo :: v_dual_cndmask_b32 v3, v18, v16, vcc_lo
	v_dual_cndmask_b32 v1, v11, v1, s0 :: v_dual_cndmask_b32 v3, v10, v3, s0
	s_delay_alu instid0(VALU_DEP_1) | instskip(NEXT) | instid1(VALU_DEP_2)
	v_dual_mov_b32 v13, v12 :: v_dual_bitop2_b32 v11, v1, v12 bitop3:0x14
	v_xor_b32_e32 v10, v3, v12
	s_delay_alu instid0(VALU_DEP_1)
	v_sub_nc_u64_e32 v[12:13], v[10:11], v[12:13]
.LBB3_46:
	s_and_not1_saveexec_b32 s0, s1
	s_cbranch_execz .LBB3_48
; %bb.47:
	v_cvt_f32_u32_e32 v1, s12
	s_sub_co_i32 s1, 0, s12
	v_mov_b32_e32 v13, 0
	s_delay_alu instid0(VALU_DEP_2) | instskip(SKIP_1) | instid1(TRANS32_DEP_1)
	v_rcp_iflag_f32_e32 v1, v1
	v_nop
	v_mul_f32_e32 v1, 0x4f7ffffe, v1
	s_delay_alu instid0(VALU_DEP_1) | instskip(NEXT) | instid1(VALU_DEP_1)
	v_cvt_u32_f32_e32 v1, v1
	v_mul_lo_u32 v3, s1, v1
	s_delay_alu instid0(VALU_DEP_1) | instskip(NEXT) | instid1(VALU_DEP_1)
	v_mul_hi_u32 v3, v1, v3
	v_add_nc_u32_e32 v1, v1, v3
	s_delay_alu instid0(VALU_DEP_1) | instskip(NEXT) | instid1(VALU_DEP_1)
	v_mul_hi_u32 v1, v6, v1
	v_mul_lo_u32 v3, v1, s12
	s_delay_alu instid0(VALU_DEP_1) | instskip(NEXT) | instid1(VALU_DEP_1)
	v_sub_nc_u32_e32 v3, v6, v3
	v_subrev_nc_u32_e32 v10, s12, v3
	v_cmp_le_u32_e32 vcc_lo, s12, v3
	s_delay_alu instid0(VALU_DEP_2) | instskip(NEXT) | instid1(VALU_DEP_1)
	v_dual_add_nc_u32 v5, 1, v1 :: v_dual_cndmask_b32 v3, v3, v10, vcc_lo
	v_cndmask_b32_e32 v1, v1, v5, vcc_lo
	s_delay_alu instid0(VALU_DEP_2) | instskip(NEXT) | instid1(VALU_DEP_2)
	v_cmp_le_u32_e32 vcc_lo, s12, v3
	v_add_nc_u32_e32 v5, 1, v1
	s_delay_alu instid0(VALU_DEP_1)
	v_cndmask_b32_e32 v12, v1, v5, vcc_lo
.LBB3_48:
	s_or_b32 exec_lo, exec_lo, s0
	v_mul_u64_e32 v[16:17], s[12:13], v[8:9]
	s_delay_alu instid0(VALU_DEP_2) | instskip(SKIP_2) | instid1(VALU_DEP_2)
	v_min_i64 v[10:11], v[12:13], s[2:3]
	s_mov_b32 s14, 0
	s_mov_b32 s15, exec_lo
	v_add_nc_u64_e32 v[12:13], s[10:11], v[16:17]
	v_cmp_gt_i64_e32 vcc_lo, v[16:17], v[6:7]
	s_delay_alu instid0(VALU_DEP_2) | instskip(SKIP_2) | instid1(SALU_CYCLE_1)
	v_cmp_ge_i64_e64 s0, v[6:7], v[12:13]
	v_mov_b32_e32 v13, s14
	s_or_b32 s0, vcc_lo, s0
	v_cndmask_b32_e64 v12, 0, 1, s0
	s_delay_alu instid0(VALU_DEP_1) | instskip(NEXT) | instid1(VALU_DEP_1)
	v_add_nc_u64_e32 v[12:13], v[8:9], v[12:13]
	v_cmpx_le_i64_e64 v[12:13], v[10:11]
	s_cbranch_execz .LBB3_51
; %bb.49:
	global_load_b64 v[8:9], v2, s[4:5]
	v_mul_u64_e32 v[16:17], s[12:13], v[12:13]
	v_mov_b32_e32 v3, 0
	s_mul_u64 s[0:1], s[12:13], s[18:19]
	s_lshl_b64 s[42:43], s[16:17], 3
	s_lshl_b64 s[0:1], s[0:1], 3
	s_delay_alu instid0(VALU_DEP_1) | instskip(SKIP_3) | instid1(VALU_DEP_4)
	v_mov_b32_e32 v5, v3
	s_wait_xcnt 0x0
	v_add_nc_u64_e32 v[2:3], s[4:5], v[2:3]
	s_sub_nc_u64 s[0:1], s[42:43], s[0:1]
	v_sub_nc_u64_e32 v[6:7], v[6:7], v[16:17]
	v_mul_u64_e32 v[16:17], s[16:17], v[12:13]
	s_delay_alu instid0(VALU_DEP_2) | instskip(NEXT) | instid1(VALU_DEP_2)
	v_mul_u64_e32 v[6:7], s[18:19], v[6:7]
	v_lshlrev_b64_e32 v[16:17], 3, v[16:17]
	s_delay_alu instid0(VALU_DEP_1) | instskip(NEXT) | instid1(VALU_DEP_1)
	v_lshl_add_u64 v[6:7], v[6:7], 3, v[16:17]
	v_add_nc_u64_e32 v[6:7], v[6:7], v[4:5]
	v_add_nc_u64_e32 v[4:5], -1, v[12:13]
	s_delay_alu instid0(VALU_DEP_2)
	v_add_nc_u64_e32 v[6:7], s[6:7], v[6:7]
.LBB3_50:                               ; =>This Inner Loop Header: Depth=1
	global_load_b64 v[12:13], v[6:7], off
	v_add_nc_u64_e32 v[4:5], 1, v[4:5]
	s_wait_xcnt 0x0
	v_add_nc_u64_e32 v[6:7], s[0:1], v[6:7]
	s_delay_alu instid0(VALU_DEP_2)
	v_cmp_ge_i64_e32 vcc_lo, v[4:5], v[10:11]
	s_or_b32 s14, vcc_lo, s14
	s_wait_loadcnt 0x0
	v_add_nc_u64_e32 v[8:9], v[12:13], v[8:9]
	global_store_b64 v[2:3], v[8:9], off
	s_wait_xcnt 0x0
	s_and_not1_b32 exec_lo, exec_lo, s14
	s_cbranch_execnz .LBB3_50
.LBB3_51:
	s_or_b32 exec_lo, exec_lo, s15
	v_add_nc_u32_e32 v0, 0x100, v0
	s_or_b32 exec_lo, exec_lo, s29
	s_delay_alu instid0(SALU_CYCLE_1) | instskip(NEXT) | instid1(VALU_DEP_1)
	s_mov_b32 s29, exec_lo
	v_cmpx_gt_i32_e64 s31, v0
	s_cbranch_execz .LBB3_3
.LBB3_52:
	v_cmp_ne_u32_e32 vcc_lo, 1, v14
	s_cbranch_vccnz .LBB3_59
; %bb.53:
	v_dual_mov_b32 v3, 0 :: v_dual_mov_b32 v4, 0
	v_mov_b32_e32 v2, 0
	s_and_not1_b32 vcc_lo, exec_lo, s33
	s_cbranch_vccnz .LBB3_58
; %bb.54:
	v_dual_mov_b32 v2, 0 :: v_dual_mov_b32 v1, v0
	v_dual_mov_b32 v4, 0 :: v_dual_mov_b32 v3, 0
	s_add_co_i32 s14, s22, 1
	s_mov_b64 s[0:1], 0xffffffffffffffe8
	s_and_b32 s14, s14, 30
	s_add_nc_u64 s[0:1], s[40:41], s[0:1]
.LBB3_55:                               ; =>This Inner Loop Header: Depth=1
	s_clause 0x1
	s_load_b128 s[44:47], s[0:1], 0x1c
	s_load_b64 s[42:43], s[0:1], 0x2c
	s_add_co_i32 s14, s14, -2
	s_delay_alu instid0(SALU_CYCLE_1) | instskip(SKIP_2) | instid1(VALU_DEP_1)
	s_cmp_eq_u32 s14, 0
	s_wait_kmcnt 0x0
	v_mul_hi_u32 v5, s45, v1
	v_add_nc_u32_e32 v5, v1, v5
	s_delay_alu instid0(VALU_DEP_1) | instskip(NEXT) | instid1(VALU_DEP_1)
	v_lshrrev_b32_e32 v5, s46, v5
	v_mul_hi_u32 v6, s42, v5
	v_mul_lo_u32 v7, v5, s44
	s_clause 0x1
	s_load_b128 s[48:51], s[0:1], 0xdc
	s_load_b64 s[44:45], s[0:1], 0xec
	s_wait_xcnt 0x0
	s_add_nc_u64 s[0:1], s[0:1], 24
	s_delay_alu instid0(VALU_DEP_2) | instskip(NEXT) | instid1(VALU_DEP_1)
	v_add_nc_u32_e32 v6, v5, v6
	v_dual_sub_nc_u32 v7, v1, v7 :: v_dual_lshrrev_b32 v1, s43, v6
	s_wait_kmcnt 0x0
	s_delay_alu instid0(VALU_DEP_1) | instskip(NEXT) | instid1(VALU_DEP_2)
	v_mad_u32 v2, v7, s48, v2
	v_mul_lo_u32 v6, v1, s47
	v_mad_u32 v3, v7, s50, v3
	v_mad_u32 v4, v7, s49, v4
	s_delay_alu instid0(VALU_DEP_3) | instskip(NEXT) | instid1(VALU_DEP_1)
	v_sub_nc_u32_e32 v5, v5, v6
	v_mad_u32 v2, v5, s51, v2
	s_delay_alu instid0(VALU_DEP_4) | instskip(NEXT) | instid1(VALU_DEP_4)
	v_mad_u32 v3, v5, s45, v3
	v_mad_u32 v4, v5, s44, v4
	s_cbranch_scc0 .LBB3_55
; %bb.56:
	s_bitcmp1_b32 s22, 0
	s_cselect_b32 s14, -1, 0
	s_delay_alu instid0(SALU_CYCLE_1)
	s_and_b32 vcc_lo, exec_lo, s14
	s_cbranch_vccnz .LBB3_58
; %bb.57:
	s_clause 0x1
	s_load_b96 s[44:46], s[0:1], 0x1c
	s_load_b96 s[48:50], s[0:1], 0xdc
	s_wait_kmcnt 0x0
	v_mul_hi_u32 v5, s45, v1
	s_delay_alu instid0(VALU_DEP_1) | instskip(NEXT) | instid1(VALU_DEP_1)
	v_add_nc_u32_e32 v5, v1, v5
	v_lshrrev_b32_e32 v5, s46, v5
	s_delay_alu instid0(VALU_DEP_1) | instskip(NEXT) | instid1(VALU_DEP_1)
	v_mul_lo_u32 v5, v5, s44
	v_sub_nc_u32_e32 v1, v1, v5
	s_delay_alu instid0(VALU_DEP_1)
	v_mad_u32 v2, v1, s48, v2
	v_mad_u32 v4, v1, s49, v4
	;; [unrolled: 1-line block ×3, first 2 shown]
.LBB3_58:
	s_cbranch_execz .LBB3_60
	s_branch .LBB3_62
.LBB3_59:
                                        ; implicit-def: $vgpr3
                                        ; implicit-def: $vgpr4
                                        ; implicit-def: $vgpr2
.LBB3_60:
	v_mov_b32_e32 v1, 0
	s_and_not1_b32 vcc_lo, exec_lo, s20
	s_delay_alu instid0(VALU_DEP_1) | instskip(NEXT) | instid1(VALU_DEP_1)
	v_mul_u64_e32 v[2:3], s[36:37], v[0:1]
	v_add_nc_u32_e32 v2, v0, v3
	s_delay_alu instid0(VALU_DEP_1) | instskip(NEXT) | instid1(VALU_DEP_1)
	v_lshrrev_b32_e32 v6, s23, v2
	v_mul_lo_u32 v2, v6, s21
	s_delay_alu instid0(VALU_DEP_1) | instskip(NEXT) | instid1(VALU_DEP_1)
	v_sub_nc_u32_e32 v4, v0, v2
	v_mul_lo_u32 v2, v4, s24
	v_mul_lo_u32 v3, v4, s26
	;; [unrolled: 1-line block ×3, first 2 shown]
	s_cbranch_vccnz .LBB3_62
; %bb.61:
	v_mov_b32_e32 v7, v1
	s_delay_alu instid0(VALU_DEP_1) | instskip(NEXT) | instid1(VALU_DEP_1)
	v_mul_u64_e32 v[8:9], s[38:39], v[6:7]
	v_add_nc_u32_e32 v1, v6, v9
	s_delay_alu instid0(VALU_DEP_1) | instskip(NEXT) | instid1(VALU_DEP_1)
	v_lshrrev_b32_e32 v1, s30, v1
	v_mul_lo_u32 v1, v1, s28
	s_delay_alu instid0(VALU_DEP_1) | instskip(NEXT) | instid1(VALU_DEP_1)
	v_sub_nc_u32_e32 v1, v6, v1
	v_mad_u32 v2, v1, s27, v2
	v_mad_u32 v4, v1, s34, v4
	v_mad_u32 v3, v1, s35, v3
.LBB3_62:
	global_load_b64 v[6:7], v3, s[8:9]
	v_mov_b64_e32 v[8:9], 0
	s_mov_b32 s1, exec_lo
	s_wait_loadcnt 0x0
	v_cmpx_lt_i64_e64 s[10:11], v[6:7]
	s_cbranch_execz .LBB3_68
; %bb.63:
	v_sub_nc_u64_e64 v[12:13], v[6:7], s[10:11]
                                        ; implicit-def: $vgpr8_vgpr9
	s_mov_b32 s0, exec_lo
	s_delay_alu instid0(VALU_DEP_1) | instskip(NEXT) | instid1(VALU_DEP_1)
	v_dual_mov_b32 v10, 0 :: v_dual_bitop2_b32 v11, s13, v13 bitop3:0x54
	v_cmpx_ne_u64_e32 0, v[10:11]
	s_xor_b32 s44, exec_lo, s0
	s_cbranch_execz .LBB3_65
; %bb.64:
	s_ashr_i32 s14, s13, 31
	s_mov_b32 s53, 0
	s_mov_b32 s15, s14
	v_dual_mov_b32 v17, v10 :: v_dual_ashrrev_i32 v8, 31, v13
	s_add_nc_u64 s[42:43], s[12:13], s[14:15]
	v_mov_b32_e32 v19, v10
	s_xor_b64 s[42:43], s[42:43], s[14:15]
	s_delay_alu instid0(VALU_DEP_2)
	v_mov_b32_e32 v9, v8
	s_cvt_f32_u32 s0, s42
	s_cvt_f32_u32 s15, s43
	s_sub_nc_u64 s[48:49], 0, s[42:43]
	v_mov_b32_e32 v25, v10
	v_add_nc_u64_e32 v[12:13], v[12:13], v[8:9]
	s_fmamk_f32 s0, s15, 0x4f800000, s0
	v_mov_b32_e32 v11, v10
	s_delay_alu instid0(SALU_CYCLE_2) | instskip(NEXT) | instid1(VALU_DEP_2)
	v_s_rcp_f32 s0, s0
	v_xor_b32_e32 v16, v12, v8
	s_delay_alu instid0(VALU_DEP_3) | instskip(SKIP_1) | instid1(TRANS32_DEP_1)
	v_xor_b32_e32 v18, v13, v8
	v_xor_b32_e32 v8, s14, v8
	s_mul_f32 s0, s0, 0x5f7ffffc
	s_delay_alu instid0(SALU_CYCLE_3) | instskip(NEXT) | instid1(SALU_CYCLE_3)
	s_mul_f32 s15, s0, 0x2f800000
	s_trunc_f32 s15, s15
	s_delay_alu instid0(SALU_CYCLE_3) | instskip(SKIP_1) | instid1(SALU_CYCLE_2)
	s_fmamk_f32 s0, s15, 0xcf800000, s0
	s_cvt_u32_f32 s47, s15
	s_cvt_u32_f32 s46, s0
	s_delay_alu instid0(SALU_CYCLE_3) | instskip(NEXT) | instid1(SALU_CYCLE_1)
	s_mul_u64 s[50:51], s[48:49], s[46:47]
	s_mul_hi_u32 s55, s46, s51
	s_mul_i32 s54, s46, s51
	s_mul_hi_u32 s52, s46, s50
	s_mul_i32 s15, s47, s50
	s_add_nc_u64 s[54:55], s[52:53], s[54:55]
	s_mul_hi_u32 s0, s47, s50
	s_mul_hi_u32 s45, s47, s51
	s_add_co_u32 s15, s54, s15
	s_add_co_ci_u32 s52, s55, s0
	s_mul_i32 s50, s47, s51
	s_add_co_ci_u32 s51, s45, 0
	s_delay_alu instid0(SALU_CYCLE_1) | instskip(NEXT) | instid1(SALU_CYCLE_1)
	s_add_nc_u64 s[50:51], s[52:53], s[50:51]
	s_add_co_u32 s46, s46, s50
	s_cselect_b32 s0, -1, 0
	s_delay_alu instid0(SALU_CYCLE_1) | instskip(SKIP_1) | instid1(SALU_CYCLE_1)
	s_cmp_lg_u32 s0, 0
	s_add_co_ci_u32 s47, s47, s51
	s_mul_u64 s[48:49], s[48:49], s[46:47]
	s_delay_alu instid0(SALU_CYCLE_1)
	s_mul_hi_u32 s51, s46, s49
	s_mul_i32 s50, s46, s49
	s_mul_hi_u32 s52, s46, s48
	s_mul_i32 s15, s47, s48
	s_add_nc_u64 s[50:51], s[52:53], s[50:51]
	s_mul_hi_u32 s0, s47, s48
	s_mul_hi_u32 s45, s47, s49
	s_add_co_u32 s15, s50, s15
	s_add_co_ci_u32 s52, s51, s0
	s_mul_i32 s48, s47, s49
	s_add_co_ci_u32 s49, s45, 0
	s_delay_alu instid0(SALU_CYCLE_1) | instskip(NEXT) | instid1(SALU_CYCLE_1)
	s_add_nc_u64 s[48:49], s[52:53], s[48:49]
	s_add_co_u32 s0, s46, s48
	s_cselect_b32 s15, -1, 0
	v_mul_hi_u32 v24, v16, s0
	s_cmp_lg_u32 s15, 0
	s_add_co_ci_u32 s52, s47, s49
	s_mov_b64 s[46:47], 0xffffffff
	v_mul_u64_e32 v[20:21], s[52:53], v[16:17]
	s_and_b64 s[46:47], s[0:1], s[46:47]
	v_mul_u64_e32 v[22:23], s[52:53], v[18:19]
	v_mul_u64_e32 v[12:13], s[46:47], v[18:19]
	s_delay_alu instid0(VALU_DEP_3) | instskip(NEXT) | instid1(VALU_DEP_1)
	v_add_nc_u64_e32 v[20:21], v[24:25], v[20:21]
	v_add_co_u32 v1, vcc_lo, v20, v12
	s_delay_alu instid0(VALU_DEP_2) | instskip(SKIP_1) | instid1(VALU_DEP_1)
	v_add_co_ci_u32_e32 v10, vcc_lo, v21, v13, vcc_lo
	v_add_co_ci_u32_e32 v23, vcc_lo, 0, v23, vcc_lo
	v_add_nc_u64_e32 v[10:11], v[10:11], v[22:23]
	s_delay_alu instid0(VALU_DEP_1) | instskip(NEXT) | instid1(VALU_DEP_1)
	v_mul_u64_e32 v[12:13], s[42:43], v[10:11]
	v_sub_nc_u32_e32 v1, v18, v13
	s_delay_alu instid0(VALU_DEP_2) | instskip(NEXT) | instid1(VALU_DEP_1)
	v_sub_co_u32 v3, vcc_lo, v16, v12
	v_sub_co_ci_u32_e64 v9, null, v18, v13, vcc_lo
	s_delay_alu instid0(VALU_DEP_3) | instskip(NEXT) | instid1(VALU_DEP_3)
	v_subrev_co_ci_u32_e64 v1, null, s43, v1, vcc_lo
	v_sub_co_u32 v5, s0, v3, s42
	v_add_nc_u64_e32 v[16:17], 1, v[10:11]
	s_delay_alu instid0(VALU_DEP_3) | instskip(NEXT) | instid1(VALU_DEP_3)
	v_subrev_co_ci_u32_e64 v1, null, 0, v1, s0
	v_cmp_le_u32_e32 vcc_lo, s42, v5
	v_cndmask_b32_e64 v5, 0, -1, vcc_lo
	s_delay_alu instid0(VALU_DEP_3)
	v_cmp_le_u32_e32 vcc_lo, s43, v1
	v_cndmask_b32_e64 v12, 0, -1, vcc_lo
	v_cmp_le_u32_e32 vcc_lo, s42, v3
	v_cndmask_b32_e64 v3, 0, -1, vcc_lo
	;; [unrolled: 2-line block ×3, first 2 shown]
	v_cmp_eq_u32_e32 vcc_lo, s43, v1
	v_cndmask_b32_e32 v1, v12, v5, vcc_lo
	v_cmp_eq_u32_e32 vcc_lo, s43, v9
	v_add_nc_u64_e32 v[12:13], 2, v[10:11]
	v_cndmask_b32_e32 v3, v15, v3, vcc_lo
	s_delay_alu instid0(VALU_DEP_4) | instskip(NEXT) | instid1(VALU_DEP_2)
	v_cmp_ne_u32_e32 vcc_lo, 0, v1
	v_cmp_ne_u32_e64 s0, 0, v3
	s_delay_alu instid0(VALU_DEP_4) | instskip(NEXT) | instid1(VALU_DEP_1)
	v_dual_cndmask_b32 v1, v17, v13, vcc_lo :: v_dual_cndmask_b32 v3, v16, v12, vcc_lo
                                        ; implicit-def: $vgpr12_vgpr13
	v_dual_cndmask_b32 v1, v11, v1, s0 :: v_dual_cndmask_b32 v3, v10, v3, s0
	s_delay_alu instid0(VALU_DEP_1) | instskip(NEXT) | instid1(VALU_DEP_2)
	v_dual_mov_b32 v9, v8 :: v_dual_bitop2_b32 v11, v1, v8 bitop3:0x14
	v_xor_b32_e32 v10, v3, v8
	s_delay_alu instid0(VALU_DEP_1)
	v_sub_nc_u64_e32 v[8:9], v[10:11], v[8:9]
.LBB3_65:
	s_and_not1_saveexec_b32 s0, s44
	s_cbranch_execz .LBB3_67
; %bb.66:
	v_cvt_f32_u32_e32 v1, s12
	s_sub_co_i32 s14, 0, s12
	v_mov_b32_e32 v9, 0
	s_delay_alu instid0(VALU_DEP_2) | instskip(SKIP_1) | instid1(TRANS32_DEP_1)
	v_rcp_iflag_f32_e32 v1, v1
	v_nop
	v_mul_f32_e32 v1, 0x4f7ffffe, v1
	s_delay_alu instid0(VALU_DEP_1) | instskip(NEXT) | instid1(VALU_DEP_1)
	v_cvt_u32_f32_e32 v1, v1
	v_mul_lo_u32 v3, s14, v1
	s_delay_alu instid0(VALU_DEP_1) | instskip(NEXT) | instid1(VALU_DEP_1)
	v_mul_hi_u32 v3, v1, v3
	v_add_nc_u32_e32 v1, v1, v3
	s_delay_alu instid0(VALU_DEP_1) | instskip(NEXT) | instid1(VALU_DEP_1)
	v_mul_hi_u32 v1, v12, v1
	v_mul_lo_u32 v3, v1, s12
	s_delay_alu instid0(VALU_DEP_1) | instskip(NEXT) | instid1(VALU_DEP_1)
	v_sub_nc_u32_e32 v3, v12, v3
	v_subrev_nc_u32_e32 v8, s12, v3
	v_cmp_le_u32_e32 vcc_lo, s12, v3
	s_delay_alu instid0(VALU_DEP_2) | instskip(NEXT) | instid1(VALU_DEP_1)
	v_dual_add_nc_u32 v5, 1, v1 :: v_dual_cndmask_b32 v3, v3, v8, vcc_lo
	v_cndmask_b32_e32 v1, v1, v5, vcc_lo
	s_delay_alu instid0(VALU_DEP_2) | instskip(NEXT) | instid1(VALU_DEP_2)
	v_cmp_le_u32_e32 vcc_lo, s12, v3
	v_add_nc_u32_e32 v5, 1, v1
	s_delay_alu instid0(VALU_DEP_1)
	v_cndmask_b32_e32 v8, v1, v5, vcc_lo
.LBB3_67:
	s_or_b32 exec_lo, exec_lo, s0
.LBB3_68:
	s_delay_alu instid0(SALU_CYCLE_1) | instskip(SKIP_2) | instid1(VALU_DEP_1)
	s_or_b32 exec_lo, exec_lo, s1
	v_dual_mov_b32 v10, 0 :: v_dual_bitop2_b32 v11, s13, v7 bitop3:0x54
                                        ; implicit-def: $vgpr12_vgpr13
	s_mov_b32 s0, exec_lo
	v_cmpx_ne_u64_e32 0, v[10:11]
	s_xor_b32 s1, exec_lo, s0
	s_cbranch_execz .LBB3_70
; %bb.69:
	s_ashr_i32 s14, s13, 31
	s_mov_b32 s51, 0
	s_mov_b32 s15, s14
	v_dual_mov_b32 v19, v10 :: v_dual_ashrrev_i32 v12, 31, v7
	s_add_nc_u64 s[42:43], s[12:13], s[14:15]
	v_mov_b32_e32 v21, v10
	s_xor_b64 s[42:43], s[42:43], s[14:15]
	s_delay_alu instid0(VALU_DEP_2)
	v_mov_b32_e32 v13, v12
	s_cvt_f32_u32 s0, s42
	s_cvt_f32_u32 s15, s43
	s_sub_nc_u64 s[46:47], 0, s[42:43]
	v_mov_b32_e32 v27, v10
	v_add_nc_u64_e32 v[16:17], v[6:7], v[12:13]
	s_fmamk_f32 s0, s15, 0x4f800000, s0
	v_mov_b32_e32 v11, v10
	s_delay_alu instid0(SALU_CYCLE_2) | instskip(NEXT) | instid1(VALU_DEP_2)
	v_s_rcp_f32 s0, s0
	v_xor_b32_e32 v18, v16, v12
	s_delay_alu instid0(VALU_DEP_3) | instskip(SKIP_1) | instid1(TRANS32_DEP_1)
	v_xor_b32_e32 v20, v17, v12
	v_xor_b32_e32 v12, s14, v12
	s_mul_f32 s0, s0, 0x5f7ffffc
	s_delay_alu instid0(SALU_CYCLE_3) | instskip(NEXT) | instid1(SALU_CYCLE_3)
	s_mul_f32 s15, s0, 0x2f800000
	s_trunc_f32 s15, s15
	s_delay_alu instid0(SALU_CYCLE_3) | instskip(SKIP_1) | instid1(SALU_CYCLE_2)
	s_fmamk_f32 s0, s15, 0xcf800000, s0
	s_cvt_u32_f32 s45, s15
	s_cvt_u32_f32 s44, s0
	s_delay_alu instid0(SALU_CYCLE_3) | instskip(NEXT) | instid1(SALU_CYCLE_1)
	s_mul_u64 s[48:49], s[46:47], s[44:45]
	s_mul_hi_u32 s53, s44, s49
	s_mul_i32 s52, s44, s49
	s_mul_hi_u32 s50, s44, s48
	s_mul_i32 s15, s45, s48
	s_add_nc_u64 s[52:53], s[50:51], s[52:53]
	s_mul_hi_u32 s0, s45, s48
	s_mul_hi_u32 s54, s45, s49
	s_add_co_u32 s15, s52, s15
	s_add_co_ci_u32 s50, s53, s0
	s_mul_i32 s48, s45, s49
	s_add_co_ci_u32 s49, s54, 0
	s_delay_alu instid0(SALU_CYCLE_1) | instskip(NEXT) | instid1(SALU_CYCLE_1)
	s_add_nc_u64 s[48:49], s[50:51], s[48:49]
	s_add_co_u32 s44, s44, s48
	s_cselect_b32 s0, -1, 0
	s_delay_alu instid0(SALU_CYCLE_1) | instskip(SKIP_1) | instid1(SALU_CYCLE_1)
	s_cmp_lg_u32 s0, 0
	s_add_co_ci_u32 s45, s45, s49
	s_mul_u64 s[46:47], s[46:47], s[44:45]
	s_delay_alu instid0(SALU_CYCLE_1)
	s_mul_hi_u32 s49, s44, s47
	s_mul_i32 s48, s44, s47
	s_mul_hi_u32 s50, s44, s46
	s_mul_i32 s15, s45, s46
	s_add_nc_u64 s[48:49], s[50:51], s[48:49]
	s_mul_hi_u32 s0, s45, s46
	s_mul_hi_u32 s52, s45, s47
	s_add_co_u32 s15, s48, s15
	s_add_co_ci_u32 s50, s49, s0
	s_mul_i32 s46, s45, s47
	s_add_co_ci_u32 s47, s52, 0
	s_delay_alu instid0(SALU_CYCLE_1) | instskip(NEXT) | instid1(SALU_CYCLE_1)
	s_add_nc_u64 s[46:47], s[50:51], s[46:47]
	s_add_co_u32 s0, s44, s46
	s_cselect_b32 s15, -1, 0
	v_mul_hi_u32 v26, v18, s0
	s_cmp_lg_u32 s15, 0
	s_add_co_ci_u32 s50, s45, s47
	s_mov_b64 s[44:45], 0xffffffff
	v_mul_u64_e32 v[22:23], s[50:51], v[18:19]
	s_and_b64 s[44:45], s[0:1], s[44:45]
	v_mul_u64_e32 v[24:25], s[50:51], v[20:21]
	v_mul_u64_e32 v[16:17], s[44:45], v[20:21]
	s_delay_alu instid0(VALU_DEP_3) | instskip(NEXT) | instid1(VALU_DEP_1)
	v_add_nc_u64_e32 v[22:23], v[26:27], v[22:23]
	v_add_co_u32 v1, vcc_lo, v22, v16
	s_delay_alu instid0(VALU_DEP_2) | instskip(SKIP_1) | instid1(VALU_DEP_1)
	v_add_co_ci_u32_e32 v10, vcc_lo, v23, v17, vcc_lo
	v_add_co_ci_u32_e32 v25, vcc_lo, 0, v25, vcc_lo
	v_add_nc_u64_e32 v[10:11], v[10:11], v[24:25]
	s_delay_alu instid0(VALU_DEP_1) | instskip(NEXT) | instid1(VALU_DEP_1)
	v_mul_u64_e32 v[16:17], s[42:43], v[10:11]
	v_sub_nc_u32_e32 v1, v20, v17
	s_delay_alu instid0(VALU_DEP_2) | instskip(NEXT) | instid1(VALU_DEP_1)
	v_sub_co_u32 v3, vcc_lo, v18, v16
	v_sub_co_ci_u32_e64 v13, null, v20, v17, vcc_lo
	s_delay_alu instid0(VALU_DEP_3) | instskip(NEXT) | instid1(VALU_DEP_3)
	v_subrev_co_ci_u32_e64 v1, null, s43, v1, vcc_lo
	v_sub_co_u32 v5, s0, v3, s42
	v_add_nc_u64_e32 v[16:17], 2, v[10:11]
	s_delay_alu instid0(VALU_DEP_3) | instskip(NEXT) | instid1(VALU_DEP_3)
	v_subrev_co_ci_u32_e64 v1, null, 0, v1, s0
	v_cmp_le_u32_e32 vcc_lo, s42, v5
	v_add_nc_u64_e32 v[18:19], 1, v[10:11]
	v_cndmask_b32_e64 v5, 0, -1, vcc_lo
	s_delay_alu instid0(VALU_DEP_4)
	v_cmp_le_u32_e32 vcc_lo, s43, v1
	v_cndmask_b32_e64 v15, 0, -1, vcc_lo
	v_cmp_le_u32_e32 vcc_lo, s42, v3
	v_cndmask_b32_e64 v3, 0, -1, vcc_lo
	;; [unrolled: 2-line block ×3, first 2 shown]
	v_cmp_eq_u32_e32 vcc_lo, s43, v1
	v_cndmask_b32_e32 v1, v15, v5, vcc_lo
	v_cmp_eq_u32_e32 vcc_lo, s43, v13
	s_delay_alu instid0(VALU_DEP_4) | instskip(NEXT) | instid1(VALU_DEP_3)
	v_cndmask_b32_e32 v3, v20, v3, vcc_lo
	v_cmp_ne_u32_e32 vcc_lo, 0, v1
	s_delay_alu instid0(VALU_DEP_2) | instskip(SKIP_1) | instid1(VALU_DEP_1)
	v_cmp_ne_u32_e64 s0, 0, v3
	v_dual_cndmask_b32 v1, v19, v17, vcc_lo :: v_dual_cndmask_b32 v3, v18, v16, vcc_lo
	v_dual_cndmask_b32 v1, v11, v1, s0 :: v_dual_cndmask_b32 v3, v10, v3, s0
	s_delay_alu instid0(VALU_DEP_1) | instskip(NEXT) | instid1(VALU_DEP_2)
	v_dual_mov_b32 v13, v12 :: v_dual_bitop2_b32 v11, v1, v12 bitop3:0x14
	v_xor_b32_e32 v10, v3, v12
	s_delay_alu instid0(VALU_DEP_1)
	v_sub_nc_u64_e32 v[12:13], v[10:11], v[12:13]
.LBB3_70:
	s_and_not1_saveexec_b32 s0, s1
	s_cbranch_execz .LBB3_72
; %bb.71:
	v_cvt_f32_u32_e32 v1, s12
	s_sub_co_i32 s1, 0, s12
	v_mov_b32_e32 v13, 0
	s_delay_alu instid0(VALU_DEP_2) | instskip(SKIP_1) | instid1(TRANS32_DEP_1)
	v_rcp_iflag_f32_e32 v1, v1
	v_nop
	v_mul_f32_e32 v1, 0x4f7ffffe, v1
	s_delay_alu instid0(VALU_DEP_1) | instskip(NEXT) | instid1(VALU_DEP_1)
	v_cvt_u32_f32_e32 v1, v1
	v_mul_lo_u32 v3, s1, v1
	s_delay_alu instid0(VALU_DEP_1) | instskip(NEXT) | instid1(VALU_DEP_1)
	v_mul_hi_u32 v3, v1, v3
	v_add_nc_u32_e32 v1, v1, v3
	s_delay_alu instid0(VALU_DEP_1) | instskip(NEXT) | instid1(VALU_DEP_1)
	v_mul_hi_u32 v1, v6, v1
	v_mul_lo_u32 v3, v1, s12
	s_delay_alu instid0(VALU_DEP_1) | instskip(NEXT) | instid1(VALU_DEP_1)
	v_sub_nc_u32_e32 v3, v6, v3
	v_subrev_nc_u32_e32 v10, s12, v3
	v_cmp_le_u32_e32 vcc_lo, s12, v3
	s_delay_alu instid0(VALU_DEP_2) | instskip(NEXT) | instid1(VALU_DEP_1)
	v_dual_add_nc_u32 v5, 1, v1 :: v_dual_cndmask_b32 v3, v3, v10, vcc_lo
	v_cndmask_b32_e32 v1, v1, v5, vcc_lo
	s_delay_alu instid0(VALU_DEP_2) | instskip(NEXT) | instid1(VALU_DEP_2)
	v_cmp_le_u32_e32 vcc_lo, s12, v3
	v_add_nc_u32_e32 v5, 1, v1
	s_delay_alu instid0(VALU_DEP_1)
	v_cndmask_b32_e32 v12, v1, v5, vcc_lo
.LBB3_72:
	s_or_b32 exec_lo, exec_lo, s0
	v_mul_u64_e32 v[16:17], s[12:13], v[8:9]
	s_delay_alu instid0(VALU_DEP_2) | instskip(SKIP_2) | instid1(VALU_DEP_2)
	v_min_i64 v[10:11], v[12:13], s[2:3]
	s_mov_b32 s14, 0
	s_mov_b32 s15, exec_lo
	v_add_nc_u64_e32 v[12:13], s[10:11], v[16:17]
	v_cmp_gt_i64_e32 vcc_lo, v[16:17], v[6:7]
	s_delay_alu instid0(VALU_DEP_2) | instskip(SKIP_2) | instid1(SALU_CYCLE_1)
	v_cmp_ge_i64_e64 s0, v[6:7], v[12:13]
	v_mov_b32_e32 v13, s14
	s_or_b32 s0, vcc_lo, s0
	v_cndmask_b32_e64 v12, 0, 1, s0
	s_delay_alu instid0(VALU_DEP_1) | instskip(NEXT) | instid1(VALU_DEP_1)
	v_add_nc_u64_e32 v[12:13], v[8:9], v[12:13]
	v_cmpx_le_i64_e64 v[12:13], v[10:11]
	s_cbranch_execz .LBB3_75
; %bb.73:
	global_load_b64 v[8:9], v2, s[4:5]
	v_mul_u64_e32 v[16:17], s[12:13], v[12:13]
	v_mov_b32_e32 v3, 0
	s_mul_u64 s[0:1], s[12:13], s[18:19]
	s_lshl_b64 s[42:43], s[16:17], 3
	s_lshl_b64 s[0:1], s[0:1], 3
	s_delay_alu instid0(VALU_DEP_1) | instskip(SKIP_3) | instid1(VALU_DEP_4)
	v_mov_b32_e32 v5, v3
	s_wait_xcnt 0x0
	v_add_nc_u64_e32 v[2:3], s[4:5], v[2:3]
	s_sub_nc_u64 s[0:1], s[42:43], s[0:1]
	v_sub_nc_u64_e32 v[6:7], v[6:7], v[16:17]
	v_mul_u64_e32 v[16:17], s[16:17], v[12:13]
	s_delay_alu instid0(VALU_DEP_2) | instskip(NEXT) | instid1(VALU_DEP_2)
	v_mul_u64_e32 v[6:7], s[18:19], v[6:7]
	v_lshlrev_b64_e32 v[16:17], 3, v[16:17]
	s_delay_alu instid0(VALU_DEP_1) | instskip(NEXT) | instid1(VALU_DEP_1)
	v_lshl_add_u64 v[6:7], v[6:7], 3, v[16:17]
	v_add_nc_u64_e32 v[6:7], v[6:7], v[4:5]
	v_add_nc_u64_e32 v[4:5], -1, v[12:13]
	s_delay_alu instid0(VALU_DEP_2)
	v_add_nc_u64_e32 v[6:7], s[6:7], v[6:7]
.LBB3_74:                               ; =>This Inner Loop Header: Depth=1
	global_load_b64 v[12:13], v[6:7], off
	v_add_nc_u64_e32 v[4:5], 1, v[4:5]
	s_wait_xcnt 0x0
	v_add_nc_u64_e32 v[6:7], s[0:1], v[6:7]
	s_delay_alu instid0(VALU_DEP_2)
	v_cmp_ge_i64_e32 vcc_lo, v[4:5], v[10:11]
	s_or_b32 s14, vcc_lo, s14
	s_wait_loadcnt 0x0
	v_add_nc_u64_e32 v[8:9], v[12:13], v[8:9]
	global_store_b64 v[2:3], v[8:9], off
	s_wait_xcnt 0x0
	s_and_not1_b32 exec_lo, exec_lo, s14
	s_cbranch_execnz .LBB3_74
.LBB3_75:
	s_or_b32 exec_lo, exec_lo, s15
	v_add_nc_u32_e32 v0, 0x100, v0
	s_or_b32 exec_lo, exec_lo, s29
	s_delay_alu instid0(SALU_CYCLE_1) | instskip(NEXT) | instid1(VALU_DEP_1)
	s_mov_b32 s0, exec_lo
	v_cmpx_gt_i32_e64 s31, v0
	s_cbranch_execz .LBB3_99
.LBB3_76:
	v_cmp_ne_u32_e32 vcc_lo, 1, v14
	s_cbranch_vccnz .LBB3_83
; %bb.77:
	v_dual_mov_b32 v3, 0 :: v_dual_mov_b32 v4, 0
	v_mov_b32_e32 v2, 0
	s_and_not1_b32 vcc_lo, exec_lo, s33
	s_cbranch_vccnz .LBB3_82
; %bb.78:
	v_dual_mov_b32 v2, 0 :: v_dual_mov_b32 v1, v0
	v_dual_mov_b32 v4, 0 :: v_dual_mov_b32 v3, 0
	s_add_co_i32 s14, s22, 1
	s_mov_b64 s[0:1], 0xffffffffffffffe8
	s_and_b32 s14, s14, 30
	s_add_nc_u64 s[0:1], s[40:41], s[0:1]
.LBB3_79:                               ; =>This Inner Loop Header: Depth=1
	s_clause 0x1
	s_load_b128 s[40:43], s[0:1], 0x1c
	s_load_b64 s[48:49], s[0:1], 0x2c
	s_add_co_i32 s14, s14, -2
	s_delay_alu instid0(SALU_CYCLE_1) | instskip(SKIP_2) | instid1(VALU_DEP_1)
	s_cmp_eq_u32 s14, 0
	s_wait_kmcnt 0x0
	v_mul_hi_u32 v5, s41, v1
	v_add_nc_u32_e32 v5, v1, v5
	s_delay_alu instid0(VALU_DEP_1) | instskip(NEXT) | instid1(VALU_DEP_1)
	v_lshrrev_b32_e32 v5, s42, v5
	v_mul_hi_u32 v6, s48, v5
	v_mul_lo_u32 v7, v5, s40
	s_clause 0x1
	s_load_b128 s[44:47], s[0:1], 0xdc
	s_load_b64 s[40:41], s[0:1], 0xec
	s_wait_xcnt 0x0
	s_add_nc_u64 s[0:1], s[0:1], 24
	s_delay_alu instid0(VALU_DEP_2) | instskip(NEXT) | instid1(VALU_DEP_1)
	v_add_nc_u32_e32 v6, v5, v6
	v_dual_sub_nc_u32 v7, v1, v7 :: v_dual_lshrrev_b32 v1, s49, v6
	s_wait_kmcnt 0x0
	s_delay_alu instid0(VALU_DEP_1) | instskip(NEXT) | instid1(VALU_DEP_2)
	v_mad_u32 v2, v7, s44, v2
	v_mul_lo_u32 v6, v1, s43
	v_mad_u32 v3, v7, s46, v3
	v_mad_u32 v4, v7, s45, v4
	s_delay_alu instid0(VALU_DEP_3) | instskip(NEXT) | instid1(VALU_DEP_1)
	v_sub_nc_u32_e32 v5, v5, v6
	v_mad_u32 v2, v5, s47, v2
	s_delay_alu instid0(VALU_DEP_4) | instskip(NEXT) | instid1(VALU_DEP_4)
	v_mad_u32 v3, v5, s41, v3
	v_mad_u32 v4, v5, s40, v4
	s_cbranch_scc0 .LBB3_79
; %bb.80:
	s_bitcmp1_b32 s22, 0
	s_cselect_b32 s14, -1, 0
	s_delay_alu instid0(SALU_CYCLE_1)
	s_and_b32 vcc_lo, exec_lo, s14
	s_cbranch_vccnz .LBB3_82
; %bb.81:
	s_clause 0x1
	s_load_b96 s[40:42], s[0:1], 0x1c
	s_load_b96 s[44:46], s[0:1], 0xdc
	s_wait_kmcnt 0x0
	v_mul_hi_u32 v5, s41, v1
	s_delay_alu instid0(VALU_DEP_1) | instskip(NEXT) | instid1(VALU_DEP_1)
	v_add_nc_u32_e32 v5, v1, v5
	v_lshrrev_b32_e32 v5, s42, v5
	s_delay_alu instid0(VALU_DEP_1) | instskip(NEXT) | instid1(VALU_DEP_1)
	v_mul_lo_u32 v5, v5, s40
	v_sub_nc_u32_e32 v1, v1, v5
	s_delay_alu instid0(VALU_DEP_1)
	v_mad_u32 v2, v1, s44, v2
	v_mad_u32 v4, v1, s45, v4
	;; [unrolled: 1-line block ×3, first 2 shown]
.LBB3_82:
	s_cbranch_execz .LBB3_84
	s_branch .LBB3_86
.LBB3_83:
                                        ; implicit-def: $vgpr3
                                        ; implicit-def: $vgpr4
                                        ; implicit-def: $vgpr2
.LBB3_84:
	v_mov_b32_e32 v1, 0
	s_and_not1_b32 vcc_lo, exec_lo, s20
	s_delay_alu instid0(VALU_DEP_1) | instskip(NEXT) | instid1(VALU_DEP_1)
	v_mul_u64_e32 v[2:3], s[36:37], v[0:1]
	v_add_nc_u32_e32 v2, v0, v3
	s_delay_alu instid0(VALU_DEP_1) | instskip(NEXT) | instid1(VALU_DEP_1)
	v_lshrrev_b32_e32 v6, s23, v2
	v_mul_lo_u32 v2, v6, s21
	s_delay_alu instid0(VALU_DEP_1) | instskip(NEXT) | instid1(VALU_DEP_1)
	v_sub_nc_u32_e32 v0, v0, v2
	v_mul_lo_u32 v2, v0, s24
	v_mul_lo_u32 v3, v0, s26
	;; [unrolled: 1-line block ×3, first 2 shown]
	s_cbranch_vccnz .LBB3_86
; %bb.85:
	v_mov_b32_e32 v7, v1
	s_delay_alu instid0(VALU_DEP_1) | instskip(NEXT) | instid1(VALU_DEP_1)
	v_mul_u64_e32 v[0:1], s[38:39], v[6:7]
	v_add_nc_u32_e32 v0, v6, v1
	s_delay_alu instid0(VALU_DEP_1) | instskip(NEXT) | instid1(VALU_DEP_1)
	v_lshrrev_b32_e32 v0, s30, v0
	v_mul_lo_u32 v0, v0, s28
	s_delay_alu instid0(VALU_DEP_1) | instskip(NEXT) | instid1(VALU_DEP_1)
	v_sub_nc_u32_e32 v0, v6, v0
	v_mad_u32 v2, v0, s27, v2
	v_mad_u32 v4, v0, s34, v4
	;; [unrolled: 1-line block ×3, first 2 shown]
.LBB3_86:
	global_load_b64 v[0:1], v3, s[8:9]
	v_mov_b64_e32 v[6:7], 0
	s_mov_b32 s1, exec_lo
	s_wait_loadcnt 0x0
	v_cmpx_lt_i64_e64 s[10:11], v[0:1]
	s_cbranch_execz .LBB3_92
; %bb.87:
	v_sub_nc_u64_e64 v[10:11], v[0:1], s[10:11]
                                        ; implicit-def: $vgpr6_vgpr7
	s_mov_b32 s0, exec_lo
	s_delay_alu instid0(VALU_DEP_1) | instskip(NEXT) | instid1(VALU_DEP_1)
	v_dual_mov_b32 v8, 0 :: v_dual_bitop2_b32 v9, s13, v11 bitop3:0x54
	v_cmpx_ne_u64_e32 0, v[8:9]
	s_xor_b32 s20, exec_lo, s0
	s_cbranch_execz .LBB3_89
; %bb.88:
	s_ashr_i32 s8, s13, 31
	s_mov_b32 s29, 0
	s_mov_b32 s9, s8
	v_dual_mov_b32 v13, v8 :: v_dual_ashrrev_i32 v6, 31, v11
	s_add_nc_u64 s[14:15], s[12:13], s[8:9]
	v_mov_b32_e32 v15, v8
	s_xor_b64 s[14:15], s[14:15], s[8:9]
	s_delay_alu instid0(VALU_DEP_2)
	v_mov_b32_e32 v7, v6
	s_cvt_f32_u32 s0, s14
	s_cvt_f32_u32 s9, s15
	s_sub_nc_u64 s[24:25], 0, s[14:15]
	v_mov_b32_e32 v21, v8
	v_add_nc_u64_e32 v[10:11], v[10:11], v[6:7]
	s_fmamk_f32 s0, s9, 0x4f800000, s0
	v_mov_b32_e32 v9, v8
	s_delay_alu instid0(SALU_CYCLE_2) | instskip(NEXT) | instid1(VALU_DEP_2)
	v_s_rcp_f32 s0, s0
	v_xor_b32_e32 v12, v10, v6
	s_delay_alu instid0(VALU_DEP_3) | instskip(SKIP_1) | instid1(TRANS32_DEP_1)
	v_xor_b32_e32 v14, v11, v6
	v_xor_b32_e32 v6, s8, v6
	s_mul_f32 s0, s0, 0x5f7ffffc
	s_delay_alu instid0(SALU_CYCLE_3) | instskip(NEXT) | instid1(SALU_CYCLE_3)
	s_mul_f32 s9, s0, 0x2f800000
	s_trunc_f32 s9, s9
	s_delay_alu instid0(SALU_CYCLE_3) | instskip(SKIP_1) | instid1(SALU_CYCLE_2)
	s_fmamk_f32 s0, s9, 0xcf800000, s0
	s_cvt_u32_f32 s23, s9
	s_cvt_u32_f32 s22, s0
	s_delay_alu instid0(SALU_CYCLE_3) | instskip(NEXT) | instid1(SALU_CYCLE_1)
	s_mul_u64 s[26:27], s[24:25], s[22:23]
	s_mul_hi_u32 s31, s22, s27
	s_mul_i32 s30, s22, s27
	s_mul_hi_u32 s28, s22, s26
	s_mul_i32 s9, s23, s26
	s_add_nc_u64 s[30:31], s[28:29], s[30:31]
	s_mul_hi_u32 s0, s23, s26
	s_mul_hi_u32 s21, s23, s27
	s_add_co_u32 s9, s30, s9
	s_add_co_ci_u32 s28, s31, s0
	s_mul_i32 s26, s23, s27
	s_add_co_ci_u32 s27, s21, 0
	s_delay_alu instid0(SALU_CYCLE_1) | instskip(NEXT) | instid1(SALU_CYCLE_1)
	s_add_nc_u64 s[26:27], s[28:29], s[26:27]
	s_add_co_u32 s22, s22, s26
	s_cselect_b32 s0, -1, 0
	s_delay_alu instid0(SALU_CYCLE_1) | instskip(SKIP_1) | instid1(SALU_CYCLE_1)
	s_cmp_lg_u32 s0, 0
	s_add_co_ci_u32 s23, s23, s27
	s_mul_u64 s[24:25], s[24:25], s[22:23]
	s_delay_alu instid0(SALU_CYCLE_1)
	s_mul_hi_u32 s27, s22, s25
	s_mul_i32 s26, s22, s25
	s_mul_hi_u32 s28, s22, s24
	s_mul_i32 s9, s23, s24
	s_add_nc_u64 s[26:27], s[28:29], s[26:27]
	s_mul_hi_u32 s0, s23, s24
	s_mul_hi_u32 s21, s23, s25
	s_add_co_u32 s9, s26, s9
	s_add_co_ci_u32 s28, s27, s0
	s_mul_i32 s24, s23, s25
	s_add_co_ci_u32 s25, s21, 0
	s_delay_alu instid0(SALU_CYCLE_1) | instskip(NEXT) | instid1(SALU_CYCLE_1)
	s_add_nc_u64 s[24:25], s[28:29], s[24:25]
	s_add_co_u32 s0, s22, s24
	s_cselect_b32 s9, -1, 0
	v_mul_hi_u32 v20, v12, s0
	s_cmp_lg_u32 s9, 0
	s_add_co_ci_u32 s28, s23, s25
	s_mov_b64 s[22:23], 0xffffffff
	v_mul_u64_e32 v[16:17], s[28:29], v[12:13]
	s_and_b64 s[22:23], s[0:1], s[22:23]
	v_mul_u64_e32 v[18:19], s[28:29], v[14:15]
	v_mul_u64_e32 v[10:11], s[22:23], v[14:15]
	s_delay_alu instid0(VALU_DEP_3) | instskip(NEXT) | instid1(VALU_DEP_1)
	v_add_nc_u64_e32 v[16:17], v[20:21], v[16:17]
	v_add_co_u32 v3, vcc_lo, v16, v10
	s_delay_alu instid0(VALU_DEP_2) | instskip(SKIP_1) | instid1(VALU_DEP_1)
	v_add_co_ci_u32_e32 v8, vcc_lo, v17, v11, vcc_lo
	v_add_co_ci_u32_e32 v19, vcc_lo, 0, v19, vcc_lo
	v_add_nc_u64_e32 v[8:9], v[8:9], v[18:19]
	s_delay_alu instid0(VALU_DEP_1) | instskip(NEXT) | instid1(VALU_DEP_1)
	v_mul_u64_e32 v[10:11], s[14:15], v[8:9]
	v_sub_nc_u32_e32 v3, v14, v11
	s_delay_alu instid0(VALU_DEP_2) | instskip(NEXT) | instid1(VALU_DEP_1)
	v_sub_co_u32 v5, vcc_lo, v12, v10
	v_sub_co_ci_u32_e64 v14, null, v14, v11, vcc_lo
	s_delay_alu instid0(VALU_DEP_3) | instskip(NEXT) | instid1(VALU_DEP_3)
	v_subrev_co_ci_u32_e64 v3, null, s15, v3, vcc_lo
	v_sub_co_u32 v7, s0, v5, s14
	v_add_nc_u64_e32 v[12:13], 1, v[8:9]
	s_delay_alu instid0(VALU_DEP_3) | instskip(NEXT) | instid1(VALU_DEP_3)
	v_subrev_co_ci_u32_e64 v3, null, 0, v3, s0
	v_cmp_le_u32_e32 vcc_lo, s14, v7
	v_cndmask_b32_e64 v7, 0, -1, vcc_lo
	s_delay_alu instid0(VALU_DEP_3)
	v_cmp_le_u32_e32 vcc_lo, s15, v3
	v_cndmask_b32_e64 v10, 0, -1, vcc_lo
	v_cmp_le_u32_e32 vcc_lo, s14, v5
	v_cndmask_b32_e64 v5, 0, -1, vcc_lo
	;; [unrolled: 2-line block ×3, first 2 shown]
	v_cmp_eq_u32_e32 vcc_lo, s15, v3
	v_cndmask_b32_e32 v3, v10, v7, vcc_lo
	v_cmp_eq_u32_e32 vcc_lo, s15, v14
	v_add_nc_u64_e32 v[10:11], 2, v[8:9]
	v_cndmask_b32_e32 v5, v15, v5, vcc_lo
	s_delay_alu instid0(VALU_DEP_4) | instskip(NEXT) | instid1(VALU_DEP_2)
	v_cmp_ne_u32_e32 vcc_lo, 0, v3
	v_cmp_ne_u32_e64 s0, 0, v5
	s_delay_alu instid0(VALU_DEP_4) | instskip(NEXT) | instid1(VALU_DEP_1)
	v_dual_cndmask_b32 v3, v13, v11, vcc_lo :: v_dual_cndmask_b32 v5, v12, v10, vcc_lo
                                        ; implicit-def: $vgpr10_vgpr11
	v_dual_cndmask_b32 v3, v9, v3, s0 :: v_dual_cndmask_b32 v5, v8, v5, s0
	s_delay_alu instid0(VALU_DEP_1) | instskip(NEXT) | instid1(VALU_DEP_2)
	v_dual_mov_b32 v7, v6 :: v_dual_bitop2_b32 v9, v3, v6 bitop3:0x14
	v_xor_b32_e32 v8, v5, v6
	s_delay_alu instid0(VALU_DEP_1)
	v_sub_nc_u64_e32 v[6:7], v[8:9], v[6:7]
.LBB3_89:
	s_and_not1_saveexec_b32 s0, s20
	s_cbranch_execz .LBB3_91
; %bb.90:
	v_cvt_f32_u32_e32 v3, s12
	s_sub_co_i32 s8, 0, s12
	s_delay_alu instid0(VALU_DEP_1) | instskip(SKIP_1) | instid1(TRANS32_DEP_1)
	v_rcp_iflag_f32_e32 v3, v3
	v_nop
	v_mul_f32_e32 v3, 0x4f7ffffe, v3
	s_delay_alu instid0(VALU_DEP_1) | instskip(NEXT) | instid1(VALU_DEP_1)
	v_cvt_u32_f32_e32 v3, v3
	v_mul_lo_u32 v5, s8, v3
	s_delay_alu instid0(VALU_DEP_1) | instskip(NEXT) | instid1(VALU_DEP_1)
	v_mul_hi_u32 v5, v3, v5
	v_add_nc_u32_e32 v3, v3, v5
	s_delay_alu instid0(VALU_DEP_1) | instskip(NEXT) | instid1(VALU_DEP_1)
	v_mul_hi_u32 v3, v10, v3
	v_mul_lo_u32 v5, v3, s12
	s_delay_alu instid0(VALU_DEP_1) | instskip(NEXT) | instid1(VALU_DEP_1)
	v_dual_add_nc_u32 v6, 1, v3 :: v_dual_sub_nc_u32 v5, v10, v5
	v_subrev_nc_u32_e32 v7, s12, v5
	v_cmp_le_u32_e32 vcc_lo, s12, v5
	s_delay_alu instid0(VALU_DEP_2) | instskip(NEXT) | instid1(VALU_DEP_4)
	v_dual_cndmask_b32 v5, v5, v7, vcc_lo :: v_dual_mov_b32 v7, 0
	v_cndmask_b32_e32 v3, v3, v6, vcc_lo
	s_delay_alu instid0(VALU_DEP_2) | instskip(NEXT) | instid1(VALU_DEP_2)
	v_cmp_le_u32_e32 vcc_lo, s12, v5
	v_add_nc_u32_e32 v6, 1, v3
	s_delay_alu instid0(VALU_DEP_1)
	v_cndmask_b32_e32 v6, v3, v6, vcc_lo
.LBB3_91:
	s_or_b32 exec_lo, exec_lo, s0
.LBB3_92:
	s_delay_alu instid0(SALU_CYCLE_1) | instskip(SKIP_2) | instid1(VALU_DEP_1)
	s_or_b32 exec_lo, exec_lo, s1
	v_dual_mov_b32 v8, 0 :: v_dual_bitop2_b32 v9, s13, v1 bitop3:0x54
                                        ; implicit-def: $vgpr10_vgpr11
	s_mov_b32 s0, exec_lo
	v_cmpx_ne_u64_e32 0, v[8:9]
	s_xor_b32 s1, exec_lo, s0
	s_cbranch_execz .LBB3_94
; %bb.93:
	s_ashr_i32 s8, s13, 31
	s_mov_b32 s27, 0
	s_mov_b32 s9, s8
	v_dual_mov_b32 v15, v8 :: v_dual_ashrrev_i32 v10, 31, v1
	s_add_nc_u64 s[14:15], s[12:13], s[8:9]
	v_dual_mov_b32 v23, v8 :: v_dual_mov_b32 v9, v8
	s_xor_b64 s[14:15], s[14:15], s[8:9]
	s_delay_alu instid0(VALU_DEP_2) | instskip(SKIP_3) | instid1(VALU_DEP_1)
	v_mov_b32_e32 v11, v10
	s_cvt_f32_u32 s0, s14
	s_cvt_f32_u32 s9, s15
	s_sub_nc_u64 s[22:23], 0, s[14:15]
	v_add_nc_u64_e32 v[12:13], v[0:1], v[10:11]
	s_delay_alu instid0(SALU_CYCLE_1) | instskip(SKIP_1) | instid1(SALU_CYCLE_2)
	s_fmamk_f32 s0, s9, 0x4f800000, s0
	v_mov_b32_e32 v17, v8
	v_s_rcp_f32 s0, s0
	s_delay_alu instid0(VALU_DEP_2) | instskip(NEXT) | instid1(VALU_DEP_3)
	v_xor_b32_e32 v14, v12, v10
	v_xor_b32_e32 v16, v13, v10
	v_xor_b32_e32 v10, s8, v10
	s_delay_alu instid0(TRANS32_DEP_1) | instskip(NEXT) | instid1(SALU_CYCLE_3)
	s_mul_f32 s0, s0, 0x5f7ffffc
	s_mul_f32 s9, s0, 0x2f800000
	s_delay_alu instid0(SALU_CYCLE_3) | instskip(NEXT) | instid1(SALU_CYCLE_3)
	s_trunc_f32 s9, s9
	s_fmamk_f32 s0, s9, 0xcf800000, s0
	s_cvt_u32_f32 s21, s9
	s_delay_alu instid0(SALU_CYCLE_2) | instskip(NEXT) | instid1(SALU_CYCLE_3)
	s_cvt_u32_f32 s20, s0
	s_mul_u64 s[24:25], s[22:23], s[20:21]
	s_delay_alu instid0(SALU_CYCLE_1)
	s_mul_hi_u32 s29, s20, s25
	s_mul_i32 s28, s20, s25
	s_mul_hi_u32 s26, s20, s24
	s_mul_i32 s9, s21, s24
	s_add_nc_u64 s[28:29], s[26:27], s[28:29]
	s_mul_hi_u32 s0, s21, s24
	s_mul_hi_u32 s30, s21, s25
	s_add_co_u32 s9, s28, s9
	s_add_co_ci_u32 s26, s29, s0
	s_mul_i32 s24, s21, s25
	s_add_co_ci_u32 s25, s30, 0
	s_delay_alu instid0(SALU_CYCLE_1) | instskip(NEXT) | instid1(SALU_CYCLE_1)
	s_add_nc_u64 s[24:25], s[26:27], s[24:25]
	s_add_co_u32 s20, s20, s24
	s_cselect_b32 s0, -1, 0
	s_delay_alu instid0(SALU_CYCLE_1) | instskip(SKIP_1) | instid1(SALU_CYCLE_1)
	s_cmp_lg_u32 s0, 0
	s_add_co_ci_u32 s21, s21, s25
	s_mul_u64 s[22:23], s[22:23], s[20:21]
	s_delay_alu instid0(SALU_CYCLE_1)
	s_mul_hi_u32 s25, s20, s23
	s_mul_i32 s24, s20, s23
	s_mul_hi_u32 s26, s20, s22
	s_mul_i32 s9, s21, s22
	s_add_nc_u64 s[24:25], s[26:27], s[24:25]
	s_mul_hi_u32 s0, s21, s22
	s_mul_hi_u32 s28, s21, s23
	s_add_co_u32 s9, s24, s9
	s_add_co_ci_u32 s26, s25, s0
	s_mul_i32 s22, s21, s23
	s_add_co_ci_u32 s23, s28, 0
	s_delay_alu instid0(SALU_CYCLE_1) | instskip(NEXT) | instid1(SALU_CYCLE_1)
	s_add_nc_u64 s[22:23], s[26:27], s[22:23]
	s_add_co_u32 s0, s20, s22
	s_cselect_b32 s9, -1, 0
	v_mul_hi_u32 v22, v14, s0
	s_cmp_lg_u32 s9, 0
	s_add_co_ci_u32 s26, s21, s23
	s_mov_b64 s[20:21], 0xffffffff
	v_mul_u64_e32 v[18:19], s[26:27], v[14:15]
	s_and_b64 s[20:21], s[0:1], s[20:21]
	v_mul_u64_e32 v[20:21], s[26:27], v[16:17]
	v_mul_u64_e32 v[12:13], s[20:21], v[16:17]
	s_delay_alu instid0(VALU_DEP_3) | instskip(NEXT) | instid1(VALU_DEP_1)
	v_add_nc_u64_e32 v[18:19], v[22:23], v[18:19]
	v_add_co_u32 v3, vcc_lo, v18, v12
	s_delay_alu instid0(VALU_DEP_2) | instskip(SKIP_1) | instid1(VALU_DEP_1)
	v_add_co_ci_u32_e32 v8, vcc_lo, v19, v13, vcc_lo
	v_add_co_ci_u32_e32 v21, vcc_lo, 0, v21, vcc_lo
	v_add_nc_u64_e32 v[8:9], v[8:9], v[20:21]
	s_delay_alu instid0(VALU_DEP_1) | instskip(NEXT) | instid1(VALU_DEP_1)
	v_mul_u64_e32 v[12:13], s[14:15], v[8:9]
	v_sub_co_u32 v5, vcc_lo, v14, v12
	v_add_nc_u64_e32 v[14:15], 1, v[8:9]
	s_delay_alu instid0(VALU_DEP_3) | instskip(SKIP_1) | instid1(VALU_DEP_4)
	v_sub_nc_u32_e32 v3, v16, v13
	v_sub_co_ci_u32_e64 v16, null, v16, v13, vcc_lo
	v_sub_co_u32 v11, s0, v5, s14
	s_delay_alu instid0(VALU_DEP_3) | instskip(NEXT) | instid1(VALU_DEP_2)
	v_subrev_co_ci_u32_e64 v3, null, s15, v3, vcc_lo
	v_cmp_le_u32_e32 vcc_lo, s14, v11
	s_delay_alu instid0(VALU_DEP_2) | instskip(SKIP_1) | instid1(VALU_DEP_2)
	v_subrev_co_ci_u32_e64 v3, null, 0, v3, s0
	v_cndmask_b32_e64 v11, 0, -1, vcc_lo
	v_cmp_le_u32_e32 vcc_lo, s15, v3
	v_cndmask_b32_e64 v12, 0, -1, vcc_lo
	v_cmp_le_u32_e32 vcc_lo, s14, v5
	;; [unrolled: 2-line block ×3, first 2 shown]
	v_cndmask_b32_e64 v17, 0, -1, vcc_lo
	v_cmp_eq_u32_e32 vcc_lo, s15, v3
	v_cndmask_b32_e32 v3, v12, v11, vcc_lo
	v_cmp_eq_u32_e32 vcc_lo, s15, v16
	v_add_nc_u64_e32 v[12:13], 2, v[8:9]
	v_cndmask_b32_e32 v5, v17, v5, vcc_lo
	s_delay_alu instid0(VALU_DEP_4) | instskip(NEXT) | instid1(VALU_DEP_2)
	v_cmp_ne_u32_e32 vcc_lo, 0, v3
	v_cmp_ne_u32_e64 s0, 0, v5
	s_delay_alu instid0(VALU_DEP_4) | instskip(NEXT) | instid1(VALU_DEP_1)
	v_dual_cndmask_b32 v3, v15, v13, vcc_lo :: v_dual_cndmask_b32 v5, v14, v12, vcc_lo
	v_dual_cndmask_b32 v3, v9, v3, s0 :: v_dual_cndmask_b32 v5, v8, v5, s0
	s_delay_alu instid0(VALU_DEP_1) | instskip(NEXT) | instid1(VALU_DEP_2)
	v_dual_mov_b32 v11, v10 :: v_dual_bitop2_b32 v9, v3, v10 bitop3:0x14
	v_xor_b32_e32 v8, v5, v10
	s_delay_alu instid0(VALU_DEP_1)
	v_sub_nc_u64_e32 v[10:11], v[8:9], v[10:11]
.LBB3_94:
	s_and_not1_saveexec_b32 s0, s1
	s_cbranch_execz .LBB3_96
; %bb.95:
	v_cvt_f32_u32_e32 v3, s12
	s_sub_co_i32 s1, 0, s12
	v_mov_b32_e32 v11, 0
	s_delay_alu instid0(VALU_DEP_2) | instskip(SKIP_1) | instid1(TRANS32_DEP_1)
	v_rcp_iflag_f32_e32 v3, v3
	v_nop
	v_mul_f32_e32 v3, 0x4f7ffffe, v3
	s_delay_alu instid0(VALU_DEP_1) | instskip(NEXT) | instid1(VALU_DEP_1)
	v_cvt_u32_f32_e32 v3, v3
	v_mul_lo_u32 v5, s1, v3
	s_delay_alu instid0(VALU_DEP_1) | instskip(NEXT) | instid1(VALU_DEP_1)
	v_mul_hi_u32 v5, v3, v5
	v_add_nc_u32_e32 v3, v3, v5
	s_delay_alu instid0(VALU_DEP_1) | instskip(NEXT) | instid1(VALU_DEP_1)
	v_mul_hi_u32 v3, v0, v3
	v_mul_lo_u32 v5, v3, s12
	s_delay_alu instid0(VALU_DEP_1) | instskip(NEXT) | instid1(VALU_DEP_1)
	v_sub_nc_u32_e32 v5, v0, v5
	v_subrev_nc_u32_e32 v9, s12, v5
	v_cmp_le_u32_e32 vcc_lo, s12, v5
	s_delay_alu instid0(VALU_DEP_2) | instskip(NEXT) | instid1(VALU_DEP_1)
	v_dual_cndmask_b32 v5, v5, v9 :: v_dual_add_nc_u32 v8, 1, v3
	v_cndmask_b32_e32 v3, v3, v8, vcc_lo
	s_delay_alu instid0(VALU_DEP_2) | instskip(NEXT) | instid1(VALU_DEP_2)
	v_cmp_le_u32_e32 vcc_lo, s12, v5
	v_add_nc_u32_e32 v8, 1, v3
	s_delay_alu instid0(VALU_DEP_1)
	v_cndmask_b32_e32 v10, v3, v8, vcc_lo
.LBB3_96:
	s_or_b32 exec_lo, exec_lo, s0
	v_mul_u64_e32 v[12:13], s[12:13], v[6:7]
	s_delay_alu instid0(VALU_DEP_2) | instskip(SKIP_1) | instid1(VALU_DEP_2)
	v_min_i64 v[8:9], v[10:11], s[2:3]
	s_mov_b32 s2, 0
	v_add_nc_u64_e32 v[10:11], s[10:11], v[12:13]
	v_cmp_gt_i64_e32 vcc_lo, v[12:13], v[0:1]
	s_delay_alu instid0(VALU_DEP_2) | instskip(SKIP_2) | instid1(SALU_CYCLE_1)
	v_cmp_ge_i64_e64 s0, v[0:1], v[10:11]
	v_mov_b32_e32 v11, s2
	s_or_b32 s0, vcc_lo, s0
	v_cndmask_b32_e64 v10, 0, 1, s0
	s_delay_alu instid0(VALU_DEP_1) | instskip(NEXT) | instid1(VALU_DEP_1)
	v_add_nc_u64_e32 v[10:11], v[6:7], v[10:11]
	v_cmp_le_i64_e32 vcc_lo, v[10:11], v[8:9]
	s_and_b32 exec_lo, exec_lo, vcc_lo
	s_cbranch_execz .LBB3_99
; %bb.97:
	global_load_b64 v[6:7], v2, s[4:5]
	v_mul_u64_e32 v[12:13], s[12:13], v[10:11]
	v_mov_b32_e32 v3, 0
	s_mul_u64 s[0:1], s[12:13], s[18:19]
	s_delay_alu instid0(SALU_CYCLE_1) | instskip(NEXT) | instid1(VALU_DEP_1)
	s_lshl_b64 s[0:1], s[0:1], 3
	v_mov_b32_e32 v5, v3
	s_delay_alu instid0(VALU_DEP_3) | instskip(SKIP_1) | instid1(VALU_DEP_2)
	v_sub_nc_u64_e32 v[0:1], v[0:1], v[12:13]
	v_mul_u64_e32 v[12:13], s[16:17], v[10:11]
	v_mul_u64_e32 v[0:1], s[18:19], v[0:1]
	s_delay_alu instid0(VALU_DEP_2) | instskip(NEXT) | instid1(VALU_DEP_1)
	v_lshlrev_b64_e32 v[12:13], 3, v[12:13]
	v_lshl_add_u64 v[0:1], v[0:1], 3, v[12:13]
	s_delay_alu instid0(VALU_DEP_1) | instskip(SKIP_4) | instid1(SALU_CYCLE_1)
	v_add_nc_u64_e32 v[4:5], v[0:1], v[4:5]
	v_add_nc_u64_e32 v[0:1], s[4:5], v[2:3]
	s_wait_xcnt 0x0
	v_add_nc_u64_e32 v[2:3], -1, v[10:11]
	s_lshl_b64 s[4:5], s[16:17], 3
	s_sub_nc_u64 s[0:1], s[4:5], s[0:1]
	s_delay_alu instid0(VALU_DEP_3)
	v_add_nc_u64_e32 v[4:5], s[6:7], v[4:5]
.LBB3_98:                               ; =>This Inner Loop Header: Depth=1
	global_load_b64 v[10:11], v[4:5], off
	v_add_nc_u64_e32 v[2:3], 1, v[2:3]
	s_wait_xcnt 0x0
	v_add_nc_u64_e32 v[4:5], s[0:1], v[4:5]
	s_delay_alu instid0(VALU_DEP_2)
	v_cmp_ge_i64_e32 vcc_lo, v[2:3], v[8:9]
	s_or_b32 s2, vcc_lo, s2
	s_wait_loadcnt 0x0
	v_add_nc_u64_e32 v[6:7], v[10:11], v[6:7]
	global_store_b64 v[0:1], v[6:7], off
	s_wait_xcnt 0x0
	s_and_not1_b32 exec_lo, exec_lo, s2
	s_cbranch_execnz .LBB3_98
.LBB3_99:
	s_endpgm
	.section	.rodata,"a",@progbits
	.p2align	6, 0x0
	.amdhsa_kernel _ZN2at6native12_GLOBAL__N_135_unfold_backward_elementwise_kernelILi256ELi4EZNS1_32_unfold_backward_internal_kernelIlEEvRNS_14TensorIteratorEllllllEUliE_EEviT1_
		.amdhsa_group_segment_fixed_size 0
		.amdhsa_private_segment_fixed_size 0
		.amdhsa_kernarg_size 464
		.amdhsa_user_sgpr_count 2
		.amdhsa_user_sgpr_dispatch_ptr 0
		.amdhsa_user_sgpr_queue_ptr 0
		.amdhsa_user_sgpr_kernarg_segment_ptr 1
		.amdhsa_user_sgpr_dispatch_id 0
		.amdhsa_user_sgpr_kernarg_preload_length 0
		.amdhsa_user_sgpr_kernarg_preload_offset 0
		.amdhsa_user_sgpr_private_segment_size 0
		.amdhsa_wavefront_size32 1
		.amdhsa_uses_dynamic_stack 0
		.amdhsa_enable_private_segment 0
		.amdhsa_system_sgpr_workgroup_id_x 1
		.amdhsa_system_sgpr_workgroup_id_y 0
		.amdhsa_system_sgpr_workgroup_id_z 0
		.amdhsa_system_sgpr_workgroup_info 0
		.amdhsa_system_vgpr_workitem_id 0
		.amdhsa_next_free_vgpr 28
		.amdhsa_next_free_sgpr 56
		.amdhsa_named_barrier_count 0
		.amdhsa_reserve_vcc 1
		.amdhsa_float_round_mode_32 0
		.amdhsa_float_round_mode_16_64 0
		.amdhsa_float_denorm_mode_32 3
		.amdhsa_float_denorm_mode_16_64 3
		.amdhsa_fp16_overflow 0
		.amdhsa_memory_ordered 1
		.amdhsa_forward_progress 1
		.amdhsa_inst_pref_size 76
		.amdhsa_round_robin_scheduling 0
		.amdhsa_exception_fp_ieee_invalid_op 0
		.amdhsa_exception_fp_denorm_src 0
		.amdhsa_exception_fp_ieee_div_zero 0
		.amdhsa_exception_fp_ieee_overflow 0
		.amdhsa_exception_fp_ieee_underflow 0
		.amdhsa_exception_fp_ieee_inexact 0
		.amdhsa_exception_int_div_zero 0
	.end_amdhsa_kernel
	.section	.text._ZN2at6native12_GLOBAL__N_135_unfold_backward_elementwise_kernelILi256ELi4EZNS1_32_unfold_backward_internal_kernelIlEEvRNS_14TensorIteratorEllllllEUliE_EEviT1_,"axG",@progbits,_ZN2at6native12_GLOBAL__N_135_unfold_backward_elementwise_kernelILi256ELi4EZNS1_32_unfold_backward_internal_kernelIlEEvRNS_14TensorIteratorEllllllEUliE_EEviT1_,comdat
.Lfunc_end3:
	.size	_ZN2at6native12_GLOBAL__N_135_unfold_backward_elementwise_kernelILi256ELi4EZNS1_32_unfold_backward_internal_kernelIlEEvRNS_14TensorIteratorEllllllEUliE_EEviT1_, .Lfunc_end3-_ZN2at6native12_GLOBAL__N_135_unfold_backward_elementwise_kernelILi256ELi4EZNS1_32_unfold_backward_internal_kernelIlEEvRNS_14TensorIteratorEllllllEUliE_EEviT1_
                                        ; -- End function
	.set _ZN2at6native12_GLOBAL__N_135_unfold_backward_elementwise_kernelILi256ELi4EZNS1_32_unfold_backward_internal_kernelIlEEvRNS_14TensorIteratorEllllllEUliE_EEviT1_.num_vgpr, 28
	.set _ZN2at6native12_GLOBAL__N_135_unfold_backward_elementwise_kernelILi256ELi4EZNS1_32_unfold_backward_internal_kernelIlEEvRNS_14TensorIteratorEllllllEUliE_EEviT1_.num_agpr, 0
	.set _ZN2at6native12_GLOBAL__N_135_unfold_backward_elementwise_kernelILi256ELi4EZNS1_32_unfold_backward_internal_kernelIlEEvRNS_14TensorIteratorEllllllEUliE_EEviT1_.numbered_sgpr, 56
	.set _ZN2at6native12_GLOBAL__N_135_unfold_backward_elementwise_kernelILi256ELi4EZNS1_32_unfold_backward_internal_kernelIlEEvRNS_14TensorIteratorEllllllEUliE_EEviT1_.num_named_barrier, 0
	.set _ZN2at6native12_GLOBAL__N_135_unfold_backward_elementwise_kernelILi256ELi4EZNS1_32_unfold_backward_internal_kernelIlEEvRNS_14TensorIteratorEllllllEUliE_EEviT1_.private_seg_size, 0
	.set _ZN2at6native12_GLOBAL__N_135_unfold_backward_elementwise_kernelILi256ELi4EZNS1_32_unfold_backward_internal_kernelIlEEvRNS_14TensorIteratorEllllllEUliE_EEviT1_.uses_vcc, 1
	.set _ZN2at6native12_GLOBAL__N_135_unfold_backward_elementwise_kernelILi256ELi4EZNS1_32_unfold_backward_internal_kernelIlEEvRNS_14TensorIteratorEllllllEUliE_EEviT1_.uses_flat_scratch, 0
	.set _ZN2at6native12_GLOBAL__N_135_unfold_backward_elementwise_kernelILi256ELi4EZNS1_32_unfold_backward_internal_kernelIlEEvRNS_14TensorIteratorEllllllEUliE_EEviT1_.has_dyn_sized_stack, 0
	.set _ZN2at6native12_GLOBAL__N_135_unfold_backward_elementwise_kernelILi256ELi4EZNS1_32_unfold_backward_internal_kernelIlEEvRNS_14TensorIteratorEllllllEUliE_EEviT1_.has_recursion, 0
	.set _ZN2at6native12_GLOBAL__N_135_unfold_backward_elementwise_kernelILi256ELi4EZNS1_32_unfold_backward_internal_kernelIlEEvRNS_14TensorIteratorEllllllEUliE_EEviT1_.has_indirect_call, 0
	.section	.AMDGPU.csdata,"",@progbits
; Kernel info:
; codeLenInByte = 9716
; TotalNumSgprs: 58
; NumVgprs: 28
; ScratchSize: 0
; MemoryBound: 0
; FloatMode: 240
; IeeeMode: 1
; LDSByteSize: 0 bytes/workgroup (compile time only)
; SGPRBlocks: 0
; VGPRBlocks: 1
; NumSGPRsForWavesPerEU: 58
; NumVGPRsForWavesPerEU: 28
; NamedBarCnt: 0
; Occupancy: 16
; WaveLimiterHint : 1
; COMPUTE_PGM_RSRC2:SCRATCH_EN: 0
; COMPUTE_PGM_RSRC2:USER_SGPR: 2
; COMPUTE_PGM_RSRC2:TRAP_HANDLER: 0
; COMPUTE_PGM_RSRC2:TGID_X_EN: 1
; COMPUTE_PGM_RSRC2:TGID_Y_EN: 0
; COMPUTE_PGM_RSRC2:TGID_Z_EN: 0
; COMPUTE_PGM_RSRC2:TIDIG_COMP_CNT: 0
	.section	.text._ZN2at6native12_GLOBAL__N_135_unfold_backward_elementwise_kernelILi256ELi4EZNS1_32_unfold_backward_internal_kernelIsEEvRNS_14TensorIteratorEllllllEUliE_EEviT1_,"axG",@progbits,_ZN2at6native12_GLOBAL__N_135_unfold_backward_elementwise_kernelILi256ELi4EZNS1_32_unfold_backward_internal_kernelIsEEvRNS_14TensorIteratorEllllllEUliE_EEviT1_,comdat
	.globl	_ZN2at6native12_GLOBAL__N_135_unfold_backward_elementwise_kernelILi256ELi4EZNS1_32_unfold_backward_internal_kernelIsEEvRNS_14TensorIteratorEllllllEUliE_EEviT1_ ; -- Begin function _ZN2at6native12_GLOBAL__N_135_unfold_backward_elementwise_kernelILi256ELi4EZNS1_32_unfold_backward_internal_kernelIsEEvRNS_14TensorIteratorEllllllEUliE_EEviT1_
	.p2align	8
	.type	_ZN2at6native12_GLOBAL__N_135_unfold_backward_elementwise_kernelILi256ELi4EZNS1_32_unfold_backward_internal_kernelIsEEvRNS_14TensorIteratorEllllllEUliE_EEviT1_,@function
_ZN2at6native12_GLOBAL__N_135_unfold_backward_elementwise_kernelILi256ELi4EZNS1_32_unfold_backward_internal_kernelIsEEvRNS_14TensorIteratorEllllllEUliE_EEviT1_: ; @_ZN2at6native12_GLOBAL__N_135_unfold_backward_elementwise_kernelILi256ELi4EZNS1_32_unfold_backward_internal_kernelIsEEvRNS_14TensorIteratorEllllllEUliE_EEviT1_
; %bb.0:
	s_clause 0x2
	s_load_b128 s[20:23], s[0:1], 0x8
	s_load_b32 s31, s[0:1], 0x0
	s_load_b512 s[4:19], s[0:1], 0x190
	s_bfe_u32 s3, ttmp6, 0x4000c
	s_clause 0x2
	s_load_b96 s[28:30], s[0:1], 0x18
	s_load_b128 s[24:27], s[0:1], 0xcc
	s_load_b64 s[34:35], s[0:1], 0xdc
	s_add_co_i32 s3, s3, 1
	s_and_b32 s2, ttmp6, 15
	s_mul_i32 s3, ttmp9, s3
	s_getreg_b32 s33, hwreg(HW_REG_IB_STS2, 6, 4)
	s_add_co_i32 s2, s2, s3
	s_add_nc_u64 s[40:41], s[0:1], 8
	s_cmp_eq_u32 s33, 0
	s_mov_b32 s37, 0
	s_cselect_b32 s2, ttmp9, s2
	s_mov_b32 s42, -1
	v_lshl_or_b32 v0, s2, 10, v0
	s_mov_b32 s39, s37
	s_wait_kmcnt 0x0
	v_sub_co_u32 v1, s3, s20, 1
	s_mov_b32 s36, s22
	s_xor_b32 s33, s3, -1
	s_mov_b32 s38, s29
	v_readfirstlane_b32 s1, v1
	v_cmp_lt_u32_e32 vcc_lo, 1, v1
	s_add_nc_u64 s[2:3], s[14:15], -1
	s_mov_b32 s29, exec_lo
	s_min_u32 s22, s1, 15
	v_cndmask_b32_e64 v14, 0, 1, vcc_lo
	s_cmp_gt_u32 s20, 1
	s_cselect_b32 s20, -1, 0
	v_cmpx_gt_i32_e64 s31, v0
	s_cbranch_execnz .LBB4_4
; %bb.1:
	s_or_b32 exec_lo, exec_lo, s29
	s_delay_alu instid0(SALU_CYCLE_1)
	s_mov_b32 s29, exec_lo
	v_cmpx_gt_i32_e64 s31, v0
	s_cbranch_execnz .LBB4_28
.LBB4_2:
	s_or_b32 exec_lo, exec_lo, s29
	s_delay_alu instid0(SALU_CYCLE_1)
	s_mov_b32 s29, exec_lo
	v_cmpx_gt_i32_e64 s31, v0
	s_cbranch_execnz .LBB4_52
.LBB4_3:
	s_or_b32 exec_lo, exec_lo, s29
	s_delay_alu instid0(SALU_CYCLE_1)
	s_mov_b32 s0, exec_lo
	v_cmpx_gt_i32_e64 s31, v0
	s_cbranch_execnz .LBB4_76
	s_branch .LBB4_99
.LBB4_4:
	s_and_not1_b32 vcc_lo, exec_lo, vcc_lo
                                        ; implicit-def: $vgpr3
                                        ; implicit-def: $vgpr4
                                        ; implicit-def: $vgpr2
	s_cbranch_vccnz .LBB4_11
; %bb.5:
	v_dual_mov_b32 v3, 0 :: v_dual_mov_b32 v4, 0
	v_mov_b32_e32 v2, 0
	s_and_not1_b32 vcc_lo, exec_lo, s33
	s_cbranch_vccnz .LBB4_10
; %bb.6:
	v_dual_mov_b32 v2, 0 :: v_dual_mov_b32 v1, v0
	v_dual_mov_b32 v4, 0 :: v_dual_mov_b32 v3, 0
	s_add_co_i32 s14, s22, 1
	s_mov_b64 s[0:1], 0xffffffffffffffe8
	s_and_b32 s14, s14, 30
	s_add_nc_u64 s[0:1], s[40:41], s[0:1]
.LBB4_7:                                ; =>This Inner Loop Header: Depth=1
	s_clause 0x1
	s_load_b128 s[44:47], s[0:1], 0x1c
	s_load_b64 s[42:43], s[0:1], 0x2c
	s_add_co_i32 s14, s14, -2
	s_delay_alu instid0(SALU_CYCLE_1) | instskip(SKIP_2) | instid1(VALU_DEP_1)
	s_cmp_lg_u32 s14, 0
	s_wait_kmcnt 0x0
	v_mul_hi_u32 v5, s45, v1
	v_add_nc_u32_e32 v5, v1, v5
	s_delay_alu instid0(VALU_DEP_1) | instskip(NEXT) | instid1(VALU_DEP_1)
	v_lshrrev_b32_e32 v5, s46, v5
	v_mul_hi_u32 v6, s42, v5
	v_mul_lo_u32 v7, v5, s44
	s_clause 0x1
	s_load_b128 s[48:51], s[0:1], 0xdc
	s_load_b64 s[44:45], s[0:1], 0xec
	s_wait_xcnt 0x0
	s_add_nc_u64 s[0:1], s[0:1], 24
	s_delay_alu instid0(VALU_DEP_2) | instskip(NEXT) | instid1(VALU_DEP_1)
	v_add_nc_u32_e32 v6, v5, v6
	v_dual_sub_nc_u32 v7, v1, v7 :: v_dual_lshrrev_b32 v1, s43, v6
	s_wait_kmcnt 0x0
	s_delay_alu instid0(VALU_DEP_1) | instskip(NEXT) | instid1(VALU_DEP_2)
	v_mad_u32 v2, v7, s48, v2
	v_mul_lo_u32 v6, v1, s47
	v_mad_u32 v3, v7, s50, v3
	v_mad_u32 v4, v7, s49, v4
	s_delay_alu instid0(VALU_DEP_3) | instskip(NEXT) | instid1(VALU_DEP_1)
	v_sub_nc_u32_e32 v5, v5, v6
	v_mad_u32 v2, v5, s51, v2
	s_delay_alu instid0(VALU_DEP_4) | instskip(NEXT) | instid1(VALU_DEP_4)
	v_mad_u32 v3, v5, s45, v3
	v_mad_u32 v4, v5, s44, v4
	s_cbranch_scc1 .LBB4_7
; %bb.8:
	s_bitcmp1_b32 s22, 0
	s_cselect_b32 s14, -1, 0
	s_delay_alu instid0(SALU_CYCLE_1)
	s_and_b32 vcc_lo, exec_lo, s14
	s_cbranch_vccnz .LBB4_10
; %bb.9:
	s_clause 0x1
	s_load_b96 s[44:46], s[0:1], 0x1c
	s_load_b96 s[48:50], s[0:1], 0xdc
	s_wait_kmcnt 0x0
	v_mul_hi_u32 v5, s45, v1
	s_delay_alu instid0(VALU_DEP_1) | instskip(NEXT) | instid1(VALU_DEP_1)
	v_add_nc_u32_e32 v5, v1, v5
	v_lshrrev_b32_e32 v5, s46, v5
	s_delay_alu instid0(VALU_DEP_1) | instskip(NEXT) | instid1(VALU_DEP_1)
	v_mul_lo_u32 v5, v5, s44
	v_sub_nc_u32_e32 v1, v1, v5
	s_delay_alu instid0(VALU_DEP_1)
	v_mad_u32 v2, v1, s48, v2
	v_mad_u32 v4, v1, s49, v4
	;; [unrolled: 1-line block ×3, first 2 shown]
.LBB4_10:
	s_mov_b32 s42, 0
.LBB4_11:
	s_delay_alu instid0(SALU_CYCLE_1)
	s_and_not1_b32 vcc_lo, exec_lo, s42
	s_cbranch_vccnz .LBB4_14
; %bb.12:
	v_mov_b32_e32 v1, 0
	s_and_not1_b32 vcc_lo, exec_lo, s20
	s_delay_alu instid0(VALU_DEP_1) | instskip(NEXT) | instid1(VALU_DEP_1)
	v_mul_u64_e32 v[2:3], s[36:37], v[0:1]
	v_add_nc_u32_e32 v2, v0, v3
	s_delay_alu instid0(VALU_DEP_1) | instskip(NEXT) | instid1(VALU_DEP_1)
	v_lshrrev_b32_e32 v6, s23, v2
	v_mul_lo_u32 v2, v6, s21
	s_delay_alu instid0(VALU_DEP_1) | instskip(NEXT) | instid1(VALU_DEP_1)
	v_sub_nc_u32_e32 v4, v0, v2
	v_mul_lo_u32 v2, v4, s24
	v_mul_lo_u32 v3, v4, s26
	;; [unrolled: 1-line block ×3, first 2 shown]
	s_cbranch_vccnz .LBB4_14
; %bb.13:
	v_mov_b32_e32 v7, v1
	s_delay_alu instid0(VALU_DEP_1) | instskip(NEXT) | instid1(VALU_DEP_1)
	v_mul_u64_e32 v[8:9], s[38:39], v[6:7]
	v_add_nc_u32_e32 v1, v6, v9
	s_delay_alu instid0(VALU_DEP_1) | instskip(NEXT) | instid1(VALU_DEP_1)
	v_lshrrev_b32_e32 v1, s30, v1
	v_mul_lo_u32 v1, v1, s28
	s_delay_alu instid0(VALU_DEP_1) | instskip(NEXT) | instid1(VALU_DEP_1)
	v_sub_nc_u32_e32 v1, v6, v1
	v_mad_u32 v2, v1, s27, v2
	v_mad_u32 v4, v1, s34, v4
	;; [unrolled: 1-line block ×3, first 2 shown]
.LBB4_14:
	global_load_b64 v[6:7], v3, s[8:9]
	v_mov_b64_e32 v[8:9], 0
	s_mov_b32 s1, exec_lo
	s_wait_loadcnt 0x0
	v_cmpx_lt_i64_e64 s[10:11], v[6:7]
	s_cbranch_execz .LBB4_20
; %bb.15:
	v_sub_nc_u64_e64 v[12:13], v[6:7], s[10:11]
                                        ; implicit-def: $vgpr8_vgpr9
	s_mov_b32 s0, exec_lo
	s_delay_alu instid0(VALU_DEP_1) | instskip(NEXT) | instid1(VALU_DEP_1)
	v_dual_mov_b32 v10, 0 :: v_dual_bitop2_b32 v11, s13, v13 bitop3:0x54
	v_cmpx_ne_u64_e32 0, v[10:11]
	s_xor_b32 s44, exec_lo, s0
	s_cbranch_execz .LBB4_17
; %bb.16:
	s_ashr_i32 s14, s13, 31
	s_mov_b32 s53, 0
	s_mov_b32 s15, s14
	v_dual_mov_b32 v17, v10 :: v_dual_ashrrev_i32 v8, 31, v13
	s_add_nc_u64 s[42:43], s[12:13], s[14:15]
	v_mov_b32_e32 v19, v10
	s_xor_b64 s[42:43], s[42:43], s[14:15]
	s_delay_alu instid0(VALU_DEP_2)
	v_mov_b32_e32 v9, v8
	s_cvt_f32_u32 s0, s42
	s_cvt_f32_u32 s15, s43
	s_sub_nc_u64 s[48:49], 0, s[42:43]
	v_mov_b32_e32 v25, v10
	v_add_nc_u64_e32 v[12:13], v[12:13], v[8:9]
	s_fmamk_f32 s0, s15, 0x4f800000, s0
	v_mov_b32_e32 v11, v10
	s_delay_alu instid0(SALU_CYCLE_2) | instskip(NEXT) | instid1(VALU_DEP_2)
	v_s_rcp_f32 s0, s0
	v_xor_b32_e32 v16, v12, v8
	s_delay_alu instid0(VALU_DEP_3) | instskip(SKIP_1) | instid1(TRANS32_DEP_1)
	v_xor_b32_e32 v18, v13, v8
	v_xor_b32_e32 v8, s14, v8
	s_mul_f32 s0, s0, 0x5f7ffffc
	s_delay_alu instid0(SALU_CYCLE_3) | instskip(NEXT) | instid1(SALU_CYCLE_3)
	s_mul_f32 s15, s0, 0x2f800000
	s_trunc_f32 s15, s15
	s_delay_alu instid0(SALU_CYCLE_3) | instskip(SKIP_1) | instid1(SALU_CYCLE_2)
	s_fmamk_f32 s0, s15, 0xcf800000, s0
	s_cvt_u32_f32 s47, s15
	s_cvt_u32_f32 s46, s0
	s_delay_alu instid0(SALU_CYCLE_3) | instskip(NEXT) | instid1(SALU_CYCLE_1)
	s_mul_u64 s[50:51], s[48:49], s[46:47]
	s_mul_hi_u32 s55, s46, s51
	s_mul_i32 s54, s46, s51
	s_mul_hi_u32 s52, s46, s50
	s_mul_i32 s15, s47, s50
	s_add_nc_u64 s[54:55], s[52:53], s[54:55]
	s_mul_hi_u32 s0, s47, s50
	s_mul_hi_u32 s45, s47, s51
	s_add_co_u32 s15, s54, s15
	s_add_co_ci_u32 s52, s55, s0
	s_mul_i32 s50, s47, s51
	s_add_co_ci_u32 s51, s45, 0
	s_delay_alu instid0(SALU_CYCLE_1) | instskip(NEXT) | instid1(SALU_CYCLE_1)
	s_add_nc_u64 s[50:51], s[52:53], s[50:51]
	s_add_co_u32 s46, s46, s50
	s_cselect_b32 s0, -1, 0
	s_delay_alu instid0(SALU_CYCLE_1) | instskip(SKIP_1) | instid1(SALU_CYCLE_1)
	s_cmp_lg_u32 s0, 0
	s_add_co_ci_u32 s47, s47, s51
	s_mul_u64 s[48:49], s[48:49], s[46:47]
	s_delay_alu instid0(SALU_CYCLE_1)
	s_mul_hi_u32 s51, s46, s49
	s_mul_i32 s50, s46, s49
	s_mul_hi_u32 s52, s46, s48
	s_mul_i32 s15, s47, s48
	s_add_nc_u64 s[50:51], s[52:53], s[50:51]
	s_mul_hi_u32 s0, s47, s48
	s_mul_hi_u32 s45, s47, s49
	s_add_co_u32 s15, s50, s15
	s_add_co_ci_u32 s52, s51, s0
	s_mul_i32 s48, s47, s49
	s_add_co_ci_u32 s49, s45, 0
	s_delay_alu instid0(SALU_CYCLE_1) | instskip(NEXT) | instid1(SALU_CYCLE_1)
	s_add_nc_u64 s[48:49], s[52:53], s[48:49]
	s_add_co_u32 s0, s46, s48
	s_cselect_b32 s15, -1, 0
	v_mul_hi_u32 v24, v16, s0
	s_cmp_lg_u32 s15, 0
	s_add_co_ci_u32 s52, s47, s49
	s_mov_b64 s[46:47], 0xffffffff
	v_mul_u64_e32 v[20:21], s[52:53], v[16:17]
	s_and_b64 s[46:47], s[0:1], s[46:47]
	v_mul_u64_e32 v[22:23], s[52:53], v[18:19]
	v_mul_u64_e32 v[12:13], s[46:47], v[18:19]
	s_delay_alu instid0(VALU_DEP_3) | instskip(NEXT) | instid1(VALU_DEP_1)
	v_add_nc_u64_e32 v[20:21], v[24:25], v[20:21]
	v_add_co_u32 v1, vcc_lo, v20, v12
	s_delay_alu instid0(VALU_DEP_2) | instskip(SKIP_1) | instid1(VALU_DEP_1)
	v_add_co_ci_u32_e32 v10, vcc_lo, v21, v13, vcc_lo
	v_add_co_ci_u32_e32 v23, vcc_lo, 0, v23, vcc_lo
	v_add_nc_u64_e32 v[10:11], v[10:11], v[22:23]
	s_delay_alu instid0(VALU_DEP_1) | instskip(NEXT) | instid1(VALU_DEP_1)
	v_mul_u64_e32 v[12:13], s[42:43], v[10:11]
	v_sub_nc_u32_e32 v1, v18, v13
	s_delay_alu instid0(VALU_DEP_2) | instskip(NEXT) | instid1(VALU_DEP_1)
	v_sub_co_u32 v3, vcc_lo, v16, v12
	v_sub_co_ci_u32_e64 v9, null, v18, v13, vcc_lo
	s_delay_alu instid0(VALU_DEP_3) | instskip(NEXT) | instid1(VALU_DEP_3)
	v_subrev_co_ci_u32_e64 v1, null, s43, v1, vcc_lo
	v_sub_co_u32 v5, s0, v3, s42
	v_add_nc_u64_e32 v[16:17], 1, v[10:11]
	s_delay_alu instid0(VALU_DEP_3) | instskip(NEXT) | instid1(VALU_DEP_3)
	v_subrev_co_ci_u32_e64 v1, null, 0, v1, s0
	v_cmp_le_u32_e32 vcc_lo, s42, v5
	v_cndmask_b32_e64 v5, 0, -1, vcc_lo
	s_delay_alu instid0(VALU_DEP_3)
	v_cmp_le_u32_e32 vcc_lo, s43, v1
	v_cndmask_b32_e64 v12, 0, -1, vcc_lo
	v_cmp_le_u32_e32 vcc_lo, s42, v3
	v_cndmask_b32_e64 v3, 0, -1, vcc_lo
	v_cmp_le_u32_e32 vcc_lo, s43, v9
	v_cndmask_b32_e64 v15, 0, -1, vcc_lo
	v_cmp_eq_u32_e32 vcc_lo, s43, v1
	v_cndmask_b32_e32 v1, v12, v5, vcc_lo
	v_cmp_eq_u32_e32 vcc_lo, s43, v9
	v_add_nc_u64_e32 v[12:13], 2, v[10:11]
	v_cndmask_b32_e32 v3, v15, v3, vcc_lo
	s_delay_alu instid0(VALU_DEP_4) | instskip(NEXT) | instid1(VALU_DEP_2)
	v_cmp_ne_u32_e32 vcc_lo, 0, v1
	v_cmp_ne_u32_e64 s0, 0, v3
	s_delay_alu instid0(VALU_DEP_4) | instskip(NEXT) | instid1(VALU_DEP_1)
	v_dual_cndmask_b32 v1, v17, v13, vcc_lo :: v_dual_cndmask_b32 v3, v16, v12, vcc_lo
                                        ; implicit-def: $vgpr12_vgpr13
	v_dual_cndmask_b32 v1, v11, v1, s0 :: v_dual_cndmask_b32 v3, v10, v3, s0
	s_delay_alu instid0(VALU_DEP_1) | instskip(NEXT) | instid1(VALU_DEP_2)
	v_dual_mov_b32 v9, v8 :: v_dual_bitop2_b32 v11, v1, v8 bitop3:0x14
	v_xor_b32_e32 v10, v3, v8
	s_delay_alu instid0(VALU_DEP_1)
	v_sub_nc_u64_e32 v[8:9], v[10:11], v[8:9]
.LBB4_17:
	s_and_not1_saveexec_b32 s0, s44
	s_cbranch_execz .LBB4_19
; %bb.18:
	v_cvt_f32_u32_e32 v1, s12
	s_sub_co_i32 s14, 0, s12
	v_mov_b32_e32 v9, 0
	s_delay_alu instid0(VALU_DEP_2) | instskip(SKIP_1) | instid1(TRANS32_DEP_1)
	v_rcp_iflag_f32_e32 v1, v1
	v_nop
	v_mul_f32_e32 v1, 0x4f7ffffe, v1
	s_delay_alu instid0(VALU_DEP_1) | instskip(NEXT) | instid1(VALU_DEP_1)
	v_cvt_u32_f32_e32 v1, v1
	v_mul_lo_u32 v3, s14, v1
	s_delay_alu instid0(VALU_DEP_1) | instskip(NEXT) | instid1(VALU_DEP_1)
	v_mul_hi_u32 v3, v1, v3
	v_add_nc_u32_e32 v1, v1, v3
	s_delay_alu instid0(VALU_DEP_1) | instskip(NEXT) | instid1(VALU_DEP_1)
	v_mul_hi_u32 v1, v12, v1
	v_mul_lo_u32 v3, v1, s12
	s_delay_alu instid0(VALU_DEP_1) | instskip(NEXT) | instid1(VALU_DEP_1)
	v_sub_nc_u32_e32 v3, v12, v3
	v_subrev_nc_u32_e32 v8, s12, v3
	v_cmp_le_u32_e32 vcc_lo, s12, v3
	s_delay_alu instid0(VALU_DEP_2) | instskip(NEXT) | instid1(VALU_DEP_1)
	v_dual_add_nc_u32 v5, 1, v1 :: v_dual_cndmask_b32 v3, v3, v8, vcc_lo
	v_cndmask_b32_e32 v1, v1, v5, vcc_lo
	s_delay_alu instid0(VALU_DEP_2) | instskip(NEXT) | instid1(VALU_DEP_2)
	v_cmp_le_u32_e32 vcc_lo, s12, v3
	v_add_nc_u32_e32 v5, 1, v1
	s_delay_alu instid0(VALU_DEP_1)
	v_cndmask_b32_e32 v8, v1, v5, vcc_lo
.LBB4_19:
	s_or_b32 exec_lo, exec_lo, s0
.LBB4_20:
	s_delay_alu instid0(SALU_CYCLE_1) | instskip(SKIP_2) | instid1(VALU_DEP_1)
	s_or_b32 exec_lo, exec_lo, s1
	v_dual_mov_b32 v10, 0 :: v_dual_bitop2_b32 v11, s13, v7 bitop3:0x54
                                        ; implicit-def: $vgpr12_vgpr13
	s_mov_b32 s0, exec_lo
	v_cmpx_ne_u64_e32 0, v[10:11]
	s_xor_b32 s1, exec_lo, s0
	s_cbranch_execz .LBB4_22
; %bb.21:
	s_ashr_i32 s14, s13, 31
	s_mov_b32 s51, 0
	s_mov_b32 s15, s14
	v_dual_mov_b32 v19, v10 :: v_dual_ashrrev_i32 v12, 31, v7
	s_add_nc_u64 s[42:43], s[12:13], s[14:15]
	v_mov_b32_e32 v21, v10
	s_xor_b64 s[42:43], s[42:43], s[14:15]
	s_delay_alu instid0(VALU_DEP_2)
	v_mov_b32_e32 v13, v12
	s_cvt_f32_u32 s0, s42
	s_cvt_f32_u32 s15, s43
	s_sub_nc_u64 s[46:47], 0, s[42:43]
	v_mov_b32_e32 v27, v10
	v_add_nc_u64_e32 v[16:17], v[6:7], v[12:13]
	s_fmamk_f32 s0, s15, 0x4f800000, s0
	v_mov_b32_e32 v11, v10
	s_delay_alu instid0(SALU_CYCLE_2) | instskip(NEXT) | instid1(VALU_DEP_2)
	v_s_rcp_f32 s0, s0
	v_xor_b32_e32 v18, v16, v12
	s_delay_alu instid0(VALU_DEP_3) | instskip(SKIP_1) | instid1(TRANS32_DEP_1)
	v_xor_b32_e32 v20, v17, v12
	v_xor_b32_e32 v12, s14, v12
	s_mul_f32 s0, s0, 0x5f7ffffc
	s_delay_alu instid0(SALU_CYCLE_3) | instskip(NEXT) | instid1(SALU_CYCLE_3)
	s_mul_f32 s15, s0, 0x2f800000
	s_trunc_f32 s15, s15
	s_delay_alu instid0(SALU_CYCLE_3) | instskip(SKIP_1) | instid1(SALU_CYCLE_2)
	s_fmamk_f32 s0, s15, 0xcf800000, s0
	s_cvt_u32_f32 s45, s15
	s_cvt_u32_f32 s44, s0
	s_delay_alu instid0(SALU_CYCLE_3) | instskip(NEXT) | instid1(SALU_CYCLE_1)
	s_mul_u64 s[48:49], s[46:47], s[44:45]
	s_mul_hi_u32 s53, s44, s49
	s_mul_i32 s52, s44, s49
	s_mul_hi_u32 s50, s44, s48
	s_mul_i32 s15, s45, s48
	s_add_nc_u64 s[52:53], s[50:51], s[52:53]
	s_mul_hi_u32 s0, s45, s48
	s_mul_hi_u32 s54, s45, s49
	s_add_co_u32 s15, s52, s15
	s_add_co_ci_u32 s50, s53, s0
	s_mul_i32 s48, s45, s49
	s_add_co_ci_u32 s49, s54, 0
	s_delay_alu instid0(SALU_CYCLE_1) | instskip(NEXT) | instid1(SALU_CYCLE_1)
	s_add_nc_u64 s[48:49], s[50:51], s[48:49]
	s_add_co_u32 s44, s44, s48
	s_cselect_b32 s0, -1, 0
	s_delay_alu instid0(SALU_CYCLE_1) | instskip(SKIP_1) | instid1(SALU_CYCLE_1)
	s_cmp_lg_u32 s0, 0
	s_add_co_ci_u32 s45, s45, s49
	s_mul_u64 s[46:47], s[46:47], s[44:45]
	s_delay_alu instid0(SALU_CYCLE_1)
	s_mul_hi_u32 s49, s44, s47
	s_mul_i32 s48, s44, s47
	s_mul_hi_u32 s50, s44, s46
	s_mul_i32 s15, s45, s46
	s_add_nc_u64 s[48:49], s[50:51], s[48:49]
	s_mul_hi_u32 s0, s45, s46
	s_mul_hi_u32 s52, s45, s47
	s_add_co_u32 s15, s48, s15
	s_add_co_ci_u32 s50, s49, s0
	s_mul_i32 s46, s45, s47
	s_add_co_ci_u32 s47, s52, 0
	s_delay_alu instid0(SALU_CYCLE_1) | instskip(NEXT) | instid1(SALU_CYCLE_1)
	s_add_nc_u64 s[46:47], s[50:51], s[46:47]
	s_add_co_u32 s0, s44, s46
	s_cselect_b32 s15, -1, 0
	v_mul_hi_u32 v26, v18, s0
	s_cmp_lg_u32 s15, 0
	s_add_co_ci_u32 s50, s45, s47
	s_mov_b64 s[44:45], 0xffffffff
	v_mul_u64_e32 v[22:23], s[50:51], v[18:19]
	s_and_b64 s[44:45], s[0:1], s[44:45]
	v_mul_u64_e32 v[24:25], s[50:51], v[20:21]
	v_mul_u64_e32 v[16:17], s[44:45], v[20:21]
	s_delay_alu instid0(VALU_DEP_3) | instskip(NEXT) | instid1(VALU_DEP_1)
	v_add_nc_u64_e32 v[22:23], v[26:27], v[22:23]
	v_add_co_u32 v1, vcc_lo, v22, v16
	s_delay_alu instid0(VALU_DEP_2) | instskip(SKIP_1) | instid1(VALU_DEP_1)
	v_add_co_ci_u32_e32 v10, vcc_lo, v23, v17, vcc_lo
	v_add_co_ci_u32_e32 v25, vcc_lo, 0, v25, vcc_lo
	v_add_nc_u64_e32 v[10:11], v[10:11], v[24:25]
	s_delay_alu instid0(VALU_DEP_1) | instskip(NEXT) | instid1(VALU_DEP_1)
	v_mul_u64_e32 v[16:17], s[42:43], v[10:11]
	v_sub_nc_u32_e32 v1, v20, v17
	s_delay_alu instid0(VALU_DEP_2) | instskip(NEXT) | instid1(VALU_DEP_1)
	v_sub_co_u32 v3, vcc_lo, v18, v16
	v_sub_co_ci_u32_e64 v13, null, v20, v17, vcc_lo
	s_delay_alu instid0(VALU_DEP_3) | instskip(NEXT) | instid1(VALU_DEP_3)
	v_subrev_co_ci_u32_e64 v1, null, s43, v1, vcc_lo
	v_sub_co_u32 v5, s0, v3, s42
	v_add_nc_u64_e32 v[16:17], 2, v[10:11]
	s_delay_alu instid0(VALU_DEP_3) | instskip(NEXT) | instid1(VALU_DEP_3)
	v_subrev_co_ci_u32_e64 v1, null, 0, v1, s0
	v_cmp_le_u32_e32 vcc_lo, s42, v5
	v_add_nc_u64_e32 v[18:19], 1, v[10:11]
	v_cndmask_b32_e64 v5, 0, -1, vcc_lo
	s_delay_alu instid0(VALU_DEP_4)
	v_cmp_le_u32_e32 vcc_lo, s43, v1
	v_cndmask_b32_e64 v15, 0, -1, vcc_lo
	v_cmp_le_u32_e32 vcc_lo, s42, v3
	v_cndmask_b32_e64 v3, 0, -1, vcc_lo
	;; [unrolled: 2-line block ×3, first 2 shown]
	v_cmp_eq_u32_e32 vcc_lo, s43, v1
	v_cndmask_b32_e32 v1, v15, v5, vcc_lo
	v_cmp_eq_u32_e32 vcc_lo, s43, v13
	s_delay_alu instid0(VALU_DEP_4) | instskip(NEXT) | instid1(VALU_DEP_3)
	v_cndmask_b32_e32 v3, v20, v3, vcc_lo
	v_cmp_ne_u32_e32 vcc_lo, 0, v1
	s_delay_alu instid0(VALU_DEP_2) | instskip(SKIP_1) | instid1(VALU_DEP_1)
	v_cmp_ne_u32_e64 s0, 0, v3
	v_dual_cndmask_b32 v1, v19, v17, vcc_lo :: v_dual_cndmask_b32 v3, v18, v16, vcc_lo
	v_dual_cndmask_b32 v1, v11, v1, s0 :: v_dual_cndmask_b32 v3, v10, v3, s0
	s_delay_alu instid0(VALU_DEP_1) | instskip(NEXT) | instid1(VALU_DEP_2)
	v_dual_mov_b32 v13, v12 :: v_dual_bitop2_b32 v11, v1, v12 bitop3:0x14
	v_xor_b32_e32 v10, v3, v12
	s_delay_alu instid0(VALU_DEP_1)
	v_sub_nc_u64_e32 v[12:13], v[10:11], v[12:13]
.LBB4_22:
	s_and_not1_saveexec_b32 s0, s1
	s_cbranch_execz .LBB4_24
; %bb.23:
	v_cvt_f32_u32_e32 v1, s12
	s_sub_co_i32 s1, 0, s12
	v_mov_b32_e32 v13, 0
	s_delay_alu instid0(VALU_DEP_2) | instskip(SKIP_1) | instid1(TRANS32_DEP_1)
	v_rcp_iflag_f32_e32 v1, v1
	v_nop
	v_mul_f32_e32 v1, 0x4f7ffffe, v1
	s_delay_alu instid0(VALU_DEP_1) | instskip(NEXT) | instid1(VALU_DEP_1)
	v_cvt_u32_f32_e32 v1, v1
	v_mul_lo_u32 v3, s1, v1
	s_delay_alu instid0(VALU_DEP_1) | instskip(NEXT) | instid1(VALU_DEP_1)
	v_mul_hi_u32 v3, v1, v3
	v_add_nc_u32_e32 v1, v1, v3
	s_delay_alu instid0(VALU_DEP_1) | instskip(NEXT) | instid1(VALU_DEP_1)
	v_mul_hi_u32 v1, v6, v1
	v_mul_lo_u32 v3, v1, s12
	s_delay_alu instid0(VALU_DEP_1) | instskip(NEXT) | instid1(VALU_DEP_1)
	v_sub_nc_u32_e32 v3, v6, v3
	v_subrev_nc_u32_e32 v10, s12, v3
	v_cmp_le_u32_e32 vcc_lo, s12, v3
	s_delay_alu instid0(VALU_DEP_2) | instskip(NEXT) | instid1(VALU_DEP_1)
	v_dual_add_nc_u32 v5, 1, v1 :: v_dual_cndmask_b32 v3, v3, v10, vcc_lo
	v_cndmask_b32_e32 v1, v1, v5, vcc_lo
	s_delay_alu instid0(VALU_DEP_2) | instskip(NEXT) | instid1(VALU_DEP_2)
	v_cmp_le_u32_e32 vcc_lo, s12, v3
	v_add_nc_u32_e32 v5, 1, v1
	s_delay_alu instid0(VALU_DEP_1)
	v_cndmask_b32_e32 v12, v1, v5, vcc_lo
.LBB4_24:
	s_or_b32 exec_lo, exec_lo, s0
	v_mul_u64_e32 v[16:17], s[12:13], v[8:9]
	s_delay_alu instid0(VALU_DEP_2) | instskip(SKIP_2) | instid1(VALU_DEP_2)
	v_min_i64 v[10:11], v[12:13], s[2:3]
	s_mov_b32 s14, 0
	s_mov_b32 s15, exec_lo
	v_add_nc_u64_e32 v[12:13], s[10:11], v[16:17]
	v_cmp_gt_i64_e32 vcc_lo, v[16:17], v[6:7]
	s_delay_alu instid0(VALU_DEP_2) | instskip(SKIP_2) | instid1(SALU_CYCLE_1)
	v_cmp_ge_i64_e64 s0, v[6:7], v[12:13]
	v_mov_b32_e32 v13, s14
	s_or_b32 s0, vcc_lo, s0
	v_cndmask_b32_e64 v12, 0, 1, s0
	s_delay_alu instid0(VALU_DEP_1) | instskip(NEXT) | instid1(VALU_DEP_1)
	v_add_nc_u64_e32 v[8:9], v[8:9], v[12:13]
	v_cmpx_le_i64_e64 v[8:9], v[10:11]
	s_cbranch_execz .LBB4_27
; %bb.25:
	global_load_u16 v1, v2, s[4:5]
	v_mul_u64_e32 v[12:13], s[12:13], v[8:9]
	v_mov_b32_e32 v3, 0
	s_mul_u64 s[0:1], s[12:13], s[18:19]
	s_lshl_b64 s[42:43], s[16:17], 1
	s_lshl_b64 s[0:1], s[0:1], 1
	s_delay_alu instid0(VALU_DEP_1) | instskip(SKIP_3) | instid1(VALU_DEP_4)
	v_mov_b32_e32 v5, v3
	s_wait_xcnt 0x0
	v_add_nc_u64_e32 v[2:3], s[4:5], v[2:3]
	s_sub_nc_u64 s[0:1], s[42:43], s[0:1]
	v_sub_nc_u64_e32 v[6:7], v[6:7], v[12:13]
	v_mul_u64_e32 v[12:13], s[16:17], v[8:9]
	s_delay_alu instid0(VALU_DEP_2) | instskip(NEXT) | instid1(VALU_DEP_2)
	v_mul_u64_e32 v[6:7], s[18:19], v[6:7]
	v_lshlrev_b64_e32 v[12:13], 1, v[12:13]
	s_delay_alu instid0(VALU_DEP_1) | instskip(NEXT) | instid1(VALU_DEP_1)
	v_lshl_add_u64 v[6:7], v[6:7], 1, v[12:13]
	v_add_nc_u64_e32 v[6:7], v[6:7], v[4:5]
	v_add_nc_u64_e32 v[4:5], -1, v[8:9]
	s_delay_alu instid0(VALU_DEP_2)
	v_add_nc_u64_e32 v[6:7], s[6:7], v[6:7]
.LBB4_26:                               ; =>This Inner Loop Header: Depth=1
	global_load_u16 v8, v[6:7], off
	v_add_nc_u64_e32 v[4:5], 1, v[4:5]
	s_wait_xcnt 0x0
	v_add_nc_u64_e32 v[6:7], s[0:1], v[6:7]
	s_delay_alu instid0(VALU_DEP_2)
	v_cmp_ge_i64_e32 vcc_lo, v[4:5], v[10:11]
	s_or_b32 s14, vcc_lo, s14
	s_wait_loadcnt 0x0
	v_add_nc_u16 v1, v8, v1
	global_store_b16 v[2:3], v1, off
	s_wait_xcnt 0x0
	s_and_not1_b32 exec_lo, exec_lo, s14
	s_cbranch_execnz .LBB4_26
.LBB4_27:
	s_or_b32 exec_lo, exec_lo, s15
	v_add_nc_u32_e32 v0, 0x100, v0
	s_or_b32 exec_lo, exec_lo, s29
	s_delay_alu instid0(SALU_CYCLE_1) | instskip(NEXT) | instid1(VALU_DEP_1)
	s_mov_b32 s29, exec_lo
	v_cmpx_gt_i32_e64 s31, v0
	s_cbranch_execz .LBB4_2
.LBB4_28:
	v_cmp_ne_u32_e32 vcc_lo, 1, v14
	s_cbranch_vccnz .LBB4_35
; %bb.29:
	v_dual_mov_b32 v3, 0 :: v_dual_mov_b32 v4, 0
	v_mov_b32_e32 v2, 0
	s_and_not1_b32 vcc_lo, exec_lo, s33
	s_cbranch_vccnz .LBB4_34
; %bb.30:
	v_dual_mov_b32 v2, 0 :: v_dual_mov_b32 v1, v0
	v_dual_mov_b32 v4, 0 :: v_dual_mov_b32 v3, 0
	s_add_co_i32 s14, s22, 1
	s_mov_b64 s[0:1], 0xffffffffffffffe8
	s_and_b32 s14, s14, 30
	s_add_nc_u64 s[0:1], s[40:41], s[0:1]
.LBB4_31:                               ; =>This Inner Loop Header: Depth=1
	s_clause 0x1
	s_load_b128 s[44:47], s[0:1], 0x1c
	s_load_b64 s[42:43], s[0:1], 0x2c
	s_add_co_i32 s14, s14, -2
	s_delay_alu instid0(SALU_CYCLE_1) | instskip(SKIP_2) | instid1(VALU_DEP_1)
	s_cmp_eq_u32 s14, 0
	s_wait_kmcnt 0x0
	v_mul_hi_u32 v5, s45, v1
	v_add_nc_u32_e32 v5, v1, v5
	s_delay_alu instid0(VALU_DEP_1) | instskip(NEXT) | instid1(VALU_DEP_1)
	v_lshrrev_b32_e32 v5, s46, v5
	v_mul_hi_u32 v6, s42, v5
	v_mul_lo_u32 v7, v5, s44
	s_clause 0x1
	s_load_b128 s[48:51], s[0:1], 0xdc
	s_load_b64 s[44:45], s[0:1], 0xec
	s_wait_xcnt 0x0
	s_add_nc_u64 s[0:1], s[0:1], 24
	s_delay_alu instid0(VALU_DEP_2) | instskip(NEXT) | instid1(VALU_DEP_1)
	v_add_nc_u32_e32 v6, v5, v6
	v_dual_sub_nc_u32 v7, v1, v7 :: v_dual_lshrrev_b32 v1, s43, v6
	s_wait_kmcnt 0x0
	s_delay_alu instid0(VALU_DEP_1) | instskip(NEXT) | instid1(VALU_DEP_2)
	v_mad_u32 v2, v7, s48, v2
	v_mul_lo_u32 v6, v1, s47
	v_mad_u32 v3, v7, s50, v3
	v_mad_u32 v4, v7, s49, v4
	s_delay_alu instid0(VALU_DEP_3) | instskip(NEXT) | instid1(VALU_DEP_1)
	v_sub_nc_u32_e32 v5, v5, v6
	v_mad_u32 v2, v5, s51, v2
	s_delay_alu instid0(VALU_DEP_4) | instskip(NEXT) | instid1(VALU_DEP_4)
	v_mad_u32 v3, v5, s45, v3
	v_mad_u32 v4, v5, s44, v4
	s_cbranch_scc0 .LBB4_31
; %bb.32:
	s_bitcmp1_b32 s22, 0
	s_cselect_b32 s14, -1, 0
	s_delay_alu instid0(SALU_CYCLE_1)
	s_and_b32 vcc_lo, exec_lo, s14
	s_cbranch_vccnz .LBB4_34
; %bb.33:
	s_clause 0x1
	s_load_b96 s[44:46], s[0:1], 0x1c
	s_load_b96 s[48:50], s[0:1], 0xdc
	s_wait_kmcnt 0x0
	v_mul_hi_u32 v5, s45, v1
	s_delay_alu instid0(VALU_DEP_1) | instskip(NEXT) | instid1(VALU_DEP_1)
	v_add_nc_u32_e32 v5, v1, v5
	v_lshrrev_b32_e32 v5, s46, v5
	s_delay_alu instid0(VALU_DEP_1) | instskip(NEXT) | instid1(VALU_DEP_1)
	v_mul_lo_u32 v5, v5, s44
	v_sub_nc_u32_e32 v1, v1, v5
	s_delay_alu instid0(VALU_DEP_1)
	v_mad_u32 v2, v1, s48, v2
	v_mad_u32 v4, v1, s49, v4
	;; [unrolled: 1-line block ×3, first 2 shown]
.LBB4_34:
	s_cbranch_execz .LBB4_36
	s_branch .LBB4_38
.LBB4_35:
                                        ; implicit-def: $vgpr3
                                        ; implicit-def: $vgpr4
                                        ; implicit-def: $vgpr2
.LBB4_36:
	v_mov_b32_e32 v1, 0
	s_and_not1_b32 vcc_lo, exec_lo, s20
	s_delay_alu instid0(VALU_DEP_1) | instskip(NEXT) | instid1(VALU_DEP_1)
	v_mul_u64_e32 v[2:3], s[36:37], v[0:1]
	v_add_nc_u32_e32 v2, v0, v3
	s_delay_alu instid0(VALU_DEP_1) | instskip(NEXT) | instid1(VALU_DEP_1)
	v_lshrrev_b32_e32 v6, s23, v2
	v_mul_lo_u32 v2, v6, s21
	s_delay_alu instid0(VALU_DEP_1) | instskip(NEXT) | instid1(VALU_DEP_1)
	v_sub_nc_u32_e32 v4, v0, v2
	v_mul_lo_u32 v2, v4, s24
	v_mul_lo_u32 v3, v4, s26
	;; [unrolled: 1-line block ×3, first 2 shown]
	s_cbranch_vccnz .LBB4_38
; %bb.37:
	v_mov_b32_e32 v7, v1
	s_delay_alu instid0(VALU_DEP_1) | instskip(NEXT) | instid1(VALU_DEP_1)
	v_mul_u64_e32 v[8:9], s[38:39], v[6:7]
	v_add_nc_u32_e32 v1, v6, v9
	s_delay_alu instid0(VALU_DEP_1) | instskip(NEXT) | instid1(VALU_DEP_1)
	v_lshrrev_b32_e32 v1, s30, v1
	v_mul_lo_u32 v1, v1, s28
	s_delay_alu instid0(VALU_DEP_1) | instskip(NEXT) | instid1(VALU_DEP_1)
	v_sub_nc_u32_e32 v1, v6, v1
	v_mad_u32 v2, v1, s27, v2
	v_mad_u32 v4, v1, s34, v4
	;; [unrolled: 1-line block ×3, first 2 shown]
.LBB4_38:
	global_load_b64 v[6:7], v3, s[8:9]
	v_mov_b64_e32 v[8:9], 0
	s_mov_b32 s1, exec_lo
	s_wait_loadcnt 0x0
	v_cmpx_lt_i64_e64 s[10:11], v[6:7]
	s_cbranch_execz .LBB4_44
; %bb.39:
	v_sub_nc_u64_e64 v[12:13], v[6:7], s[10:11]
                                        ; implicit-def: $vgpr8_vgpr9
	s_mov_b32 s0, exec_lo
	s_delay_alu instid0(VALU_DEP_1) | instskip(NEXT) | instid1(VALU_DEP_1)
	v_dual_mov_b32 v10, 0 :: v_dual_bitop2_b32 v11, s13, v13 bitop3:0x54
	v_cmpx_ne_u64_e32 0, v[10:11]
	s_xor_b32 s44, exec_lo, s0
	s_cbranch_execz .LBB4_41
; %bb.40:
	s_ashr_i32 s14, s13, 31
	s_mov_b32 s53, 0
	s_mov_b32 s15, s14
	v_dual_mov_b32 v17, v10 :: v_dual_ashrrev_i32 v8, 31, v13
	s_add_nc_u64 s[42:43], s[12:13], s[14:15]
	v_mov_b32_e32 v19, v10
	s_xor_b64 s[42:43], s[42:43], s[14:15]
	s_delay_alu instid0(VALU_DEP_2)
	v_mov_b32_e32 v9, v8
	s_cvt_f32_u32 s0, s42
	s_cvt_f32_u32 s15, s43
	s_sub_nc_u64 s[48:49], 0, s[42:43]
	v_mov_b32_e32 v25, v10
	v_add_nc_u64_e32 v[12:13], v[12:13], v[8:9]
	s_fmamk_f32 s0, s15, 0x4f800000, s0
	v_mov_b32_e32 v11, v10
	s_delay_alu instid0(SALU_CYCLE_2) | instskip(NEXT) | instid1(VALU_DEP_2)
	v_s_rcp_f32 s0, s0
	v_xor_b32_e32 v16, v12, v8
	s_delay_alu instid0(VALU_DEP_3) | instskip(SKIP_1) | instid1(TRANS32_DEP_1)
	v_xor_b32_e32 v18, v13, v8
	v_xor_b32_e32 v8, s14, v8
	s_mul_f32 s0, s0, 0x5f7ffffc
	s_delay_alu instid0(SALU_CYCLE_3) | instskip(NEXT) | instid1(SALU_CYCLE_3)
	s_mul_f32 s15, s0, 0x2f800000
	s_trunc_f32 s15, s15
	s_delay_alu instid0(SALU_CYCLE_3) | instskip(SKIP_1) | instid1(SALU_CYCLE_2)
	s_fmamk_f32 s0, s15, 0xcf800000, s0
	s_cvt_u32_f32 s47, s15
	s_cvt_u32_f32 s46, s0
	s_delay_alu instid0(SALU_CYCLE_3) | instskip(NEXT) | instid1(SALU_CYCLE_1)
	s_mul_u64 s[50:51], s[48:49], s[46:47]
	s_mul_hi_u32 s55, s46, s51
	s_mul_i32 s54, s46, s51
	s_mul_hi_u32 s52, s46, s50
	s_mul_i32 s15, s47, s50
	s_add_nc_u64 s[54:55], s[52:53], s[54:55]
	s_mul_hi_u32 s0, s47, s50
	s_mul_hi_u32 s45, s47, s51
	s_add_co_u32 s15, s54, s15
	s_add_co_ci_u32 s52, s55, s0
	s_mul_i32 s50, s47, s51
	s_add_co_ci_u32 s51, s45, 0
	s_delay_alu instid0(SALU_CYCLE_1) | instskip(NEXT) | instid1(SALU_CYCLE_1)
	s_add_nc_u64 s[50:51], s[52:53], s[50:51]
	s_add_co_u32 s46, s46, s50
	s_cselect_b32 s0, -1, 0
	s_delay_alu instid0(SALU_CYCLE_1) | instskip(SKIP_1) | instid1(SALU_CYCLE_1)
	s_cmp_lg_u32 s0, 0
	s_add_co_ci_u32 s47, s47, s51
	s_mul_u64 s[48:49], s[48:49], s[46:47]
	s_delay_alu instid0(SALU_CYCLE_1)
	s_mul_hi_u32 s51, s46, s49
	s_mul_i32 s50, s46, s49
	s_mul_hi_u32 s52, s46, s48
	s_mul_i32 s15, s47, s48
	s_add_nc_u64 s[50:51], s[52:53], s[50:51]
	s_mul_hi_u32 s0, s47, s48
	s_mul_hi_u32 s45, s47, s49
	s_add_co_u32 s15, s50, s15
	s_add_co_ci_u32 s52, s51, s0
	s_mul_i32 s48, s47, s49
	s_add_co_ci_u32 s49, s45, 0
	s_delay_alu instid0(SALU_CYCLE_1) | instskip(NEXT) | instid1(SALU_CYCLE_1)
	s_add_nc_u64 s[48:49], s[52:53], s[48:49]
	s_add_co_u32 s0, s46, s48
	s_cselect_b32 s15, -1, 0
	v_mul_hi_u32 v24, v16, s0
	s_cmp_lg_u32 s15, 0
	s_add_co_ci_u32 s52, s47, s49
	s_mov_b64 s[46:47], 0xffffffff
	v_mul_u64_e32 v[20:21], s[52:53], v[16:17]
	s_and_b64 s[46:47], s[0:1], s[46:47]
	v_mul_u64_e32 v[22:23], s[52:53], v[18:19]
	v_mul_u64_e32 v[12:13], s[46:47], v[18:19]
	s_delay_alu instid0(VALU_DEP_3) | instskip(NEXT) | instid1(VALU_DEP_1)
	v_add_nc_u64_e32 v[20:21], v[24:25], v[20:21]
	v_add_co_u32 v1, vcc_lo, v20, v12
	s_delay_alu instid0(VALU_DEP_2) | instskip(SKIP_1) | instid1(VALU_DEP_1)
	v_add_co_ci_u32_e32 v10, vcc_lo, v21, v13, vcc_lo
	v_add_co_ci_u32_e32 v23, vcc_lo, 0, v23, vcc_lo
	v_add_nc_u64_e32 v[10:11], v[10:11], v[22:23]
	s_delay_alu instid0(VALU_DEP_1) | instskip(NEXT) | instid1(VALU_DEP_1)
	v_mul_u64_e32 v[12:13], s[42:43], v[10:11]
	v_sub_nc_u32_e32 v1, v18, v13
	s_delay_alu instid0(VALU_DEP_2) | instskip(NEXT) | instid1(VALU_DEP_1)
	v_sub_co_u32 v3, vcc_lo, v16, v12
	v_sub_co_ci_u32_e64 v9, null, v18, v13, vcc_lo
	s_delay_alu instid0(VALU_DEP_3) | instskip(NEXT) | instid1(VALU_DEP_3)
	v_subrev_co_ci_u32_e64 v1, null, s43, v1, vcc_lo
	v_sub_co_u32 v5, s0, v3, s42
	v_add_nc_u64_e32 v[16:17], 1, v[10:11]
	s_delay_alu instid0(VALU_DEP_3) | instskip(NEXT) | instid1(VALU_DEP_3)
	v_subrev_co_ci_u32_e64 v1, null, 0, v1, s0
	v_cmp_le_u32_e32 vcc_lo, s42, v5
	v_cndmask_b32_e64 v5, 0, -1, vcc_lo
	s_delay_alu instid0(VALU_DEP_3)
	v_cmp_le_u32_e32 vcc_lo, s43, v1
	v_cndmask_b32_e64 v12, 0, -1, vcc_lo
	v_cmp_le_u32_e32 vcc_lo, s42, v3
	v_cndmask_b32_e64 v3, 0, -1, vcc_lo
	;; [unrolled: 2-line block ×3, first 2 shown]
	v_cmp_eq_u32_e32 vcc_lo, s43, v1
	v_cndmask_b32_e32 v1, v12, v5, vcc_lo
	v_cmp_eq_u32_e32 vcc_lo, s43, v9
	v_add_nc_u64_e32 v[12:13], 2, v[10:11]
	v_cndmask_b32_e32 v3, v15, v3, vcc_lo
	s_delay_alu instid0(VALU_DEP_4) | instskip(NEXT) | instid1(VALU_DEP_2)
	v_cmp_ne_u32_e32 vcc_lo, 0, v1
	v_cmp_ne_u32_e64 s0, 0, v3
	s_delay_alu instid0(VALU_DEP_4) | instskip(NEXT) | instid1(VALU_DEP_1)
	v_dual_cndmask_b32 v1, v17, v13, vcc_lo :: v_dual_cndmask_b32 v3, v16, v12, vcc_lo
                                        ; implicit-def: $vgpr12_vgpr13
	v_dual_cndmask_b32 v1, v11, v1, s0 :: v_dual_cndmask_b32 v3, v10, v3, s0
	s_delay_alu instid0(VALU_DEP_1) | instskip(NEXT) | instid1(VALU_DEP_2)
	v_dual_mov_b32 v9, v8 :: v_dual_bitop2_b32 v11, v1, v8 bitop3:0x14
	v_xor_b32_e32 v10, v3, v8
	s_delay_alu instid0(VALU_DEP_1)
	v_sub_nc_u64_e32 v[8:9], v[10:11], v[8:9]
.LBB4_41:
	s_and_not1_saveexec_b32 s0, s44
	s_cbranch_execz .LBB4_43
; %bb.42:
	v_cvt_f32_u32_e32 v1, s12
	s_sub_co_i32 s14, 0, s12
	v_mov_b32_e32 v9, 0
	s_delay_alu instid0(VALU_DEP_2) | instskip(SKIP_1) | instid1(TRANS32_DEP_1)
	v_rcp_iflag_f32_e32 v1, v1
	v_nop
	v_mul_f32_e32 v1, 0x4f7ffffe, v1
	s_delay_alu instid0(VALU_DEP_1) | instskip(NEXT) | instid1(VALU_DEP_1)
	v_cvt_u32_f32_e32 v1, v1
	v_mul_lo_u32 v3, s14, v1
	s_delay_alu instid0(VALU_DEP_1) | instskip(NEXT) | instid1(VALU_DEP_1)
	v_mul_hi_u32 v3, v1, v3
	v_add_nc_u32_e32 v1, v1, v3
	s_delay_alu instid0(VALU_DEP_1) | instskip(NEXT) | instid1(VALU_DEP_1)
	v_mul_hi_u32 v1, v12, v1
	v_mul_lo_u32 v3, v1, s12
	s_delay_alu instid0(VALU_DEP_1) | instskip(NEXT) | instid1(VALU_DEP_1)
	v_sub_nc_u32_e32 v3, v12, v3
	v_subrev_nc_u32_e32 v8, s12, v3
	v_cmp_le_u32_e32 vcc_lo, s12, v3
	s_delay_alu instid0(VALU_DEP_2) | instskip(NEXT) | instid1(VALU_DEP_1)
	v_dual_add_nc_u32 v5, 1, v1 :: v_dual_cndmask_b32 v3, v3, v8, vcc_lo
	v_cndmask_b32_e32 v1, v1, v5, vcc_lo
	s_delay_alu instid0(VALU_DEP_2) | instskip(NEXT) | instid1(VALU_DEP_2)
	v_cmp_le_u32_e32 vcc_lo, s12, v3
	v_add_nc_u32_e32 v5, 1, v1
	s_delay_alu instid0(VALU_DEP_1)
	v_cndmask_b32_e32 v8, v1, v5, vcc_lo
.LBB4_43:
	s_or_b32 exec_lo, exec_lo, s0
.LBB4_44:
	s_delay_alu instid0(SALU_CYCLE_1) | instskip(SKIP_2) | instid1(VALU_DEP_1)
	s_or_b32 exec_lo, exec_lo, s1
	v_dual_mov_b32 v10, 0 :: v_dual_bitop2_b32 v11, s13, v7 bitop3:0x54
                                        ; implicit-def: $vgpr12_vgpr13
	s_mov_b32 s0, exec_lo
	v_cmpx_ne_u64_e32 0, v[10:11]
	s_xor_b32 s1, exec_lo, s0
	s_cbranch_execz .LBB4_46
; %bb.45:
	s_ashr_i32 s14, s13, 31
	s_mov_b32 s51, 0
	s_mov_b32 s15, s14
	v_dual_mov_b32 v19, v10 :: v_dual_ashrrev_i32 v12, 31, v7
	s_add_nc_u64 s[42:43], s[12:13], s[14:15]
	v_mov_b32_e32 v21, v10
	s_xor_b64 s[42:43], s[42:43], s[14:15]
	s_delay_alu instid0(VALU_DEP_2)
	v_mov_b32_e32 v13, v12
	s_cvt_f32_u32 s0, s42
	s_cvt_f32_u32 s15, s43
	s_sub_nc_u64 s[46:47], 0, s[42:43]
	v_mov_b32_e32 v27, v10
	v_add_nc_u64_e32 v[16:17], v[6:7], v[12:13]
	s_fmamk_f32 s0, s15, 0x4f800000, s0
	v_mov_b32_e32 v11, v10
	s_delay_alu instid0(SALU_CYCLE_2) | instskip(NEXT) | instid1(VALU_DEP_2)
	v_s_rcp_f32 s0, s0
	v_xor_b32_e32 v18, v16, v12
	s_delay_alu instid0(VALU_DEP_3) | instskip(SKIP_1) | instid1(TRANS32_DEP_1)
	v_xor_b32_e32 v20, v17, v12
	v_xor_b32_e32 v12, s14, v12
	s_mul_f32 s0, s0, 0x5f7ffffc
	s_delay_alu instid0(SALU_CYCLE_3) | instskip(NEXT) | instid1(SALU_CYCLE_3)
	s_mul_f32 s15, s0, 0x2f800000
	s_trunc_f32 s15, s15
	s_delay_alu instid0(SALU_CYCLE_3) | instskip(SKIP_1) | instid1(SALU_CYCLE_2)
	s_fmamk_f32 s0, s15, 0xcf800000, s0
	s_cvt_u32_f32 s45, s15
	s_cvt_u32_f32 s44, s0
	s_delay_alu instid0(SALU_CYCLE_3) | instskip(NEXT) | instid1(SALU_CYCLE_1)
	s_mul_u64 s[48:49], s[46:47], s[44:45]
	s_mul_hi_u32 s53, s44, s49
	s_mul_i32 s52, s44, s49
	s_mul_hi_u32 s50, s44, s48
	s_mul_i32 s15, s45, s48
	s_add_nc_u64 s[52:53], s[50:51], s[52:53]
	s_mul_hi_u32 s0, s45, s48
	s_mul_hi_u32 s54, s45, s49
	s_add_co_u32 s15, s52, s15
	s_add_co_ci_u32 s50, s53, s0
	s_mul_i32 s48, s45, s49
	s_add_co_ci_u32 s49, s54, 0
	s_delay_alu instid0(SALU_CYCLE_1) | instskip(NEXT) | instid1(SALU_CYCLE_1)
	s_add_nc_u64 s[48:49], s[50:51], s[48:49]
	s_add_co_u32 s44, s44, s48
	s_cselect_b32 s0, -1, 0
	s_delay_alu instid0(SALU_CYCLE_1) | instskip(SKIP_1) | instid1(SALU_CYCLE_1)
	s_cmp_lg_u32 s0, 0
	s_add_co_ci_u32 s45, s45, s49
	s_mul_u64 s[46:47], s[46:47], s[44:45]
	s_delay_alu instid0(SALU_CYCLE_1)
	s_mul_hi_u32 s49, s44, s47
	s_mul_i32 s48, s44, s47
	s_mul_hi_u32 s50, s44, s46
	s_mul_i32 s15, s45, s46
	s_add_nc_u64 s[48:49], s[50:51], s[48:49]
	s_mul_hi_u32 s0, s45, s46
	s_mul_hi_u32 s52, s45, s47
	s_add_co_u32 s15, s48, s15
	s_add_co_ci_u32 s50, s49, s0
	s_mul_i32 s46, s45, s47
	s_add_co_ci_u32 s47, s52, 0
	s_delay_alu instid0(SALU_CYCLE_1) | instskip(NEXT) | instid1(SALU_CYCLE_1)
	s_add_nc_u64 s[46:47], s[50:51], s[46:47]
	s_add_co_u32 s0, s44, s46
	s_cselect_b32 s15, -1, 0
	v_mul_hi_u32 v26, v18, s0
	s_cmp_lg_u32 s15, 0
	s_add_co_ci_u32 s50, s45, s47
	s_mov_b64 s[44:45], 0xffffffff
	v_mul_u64_e32 v[22:23], s[50:51], v[18:19]
	s_and_b64 s[44:45], s[0:1], s[44:45]
	v_mul_u64_e32 v[24:25], s[50:51], v[20:21]
	v_mul_u64_e32 v[16:17], s[44:45], v[20:21]
	s_delay_alu instid0(VALU_DEP_3) | instskip(NEXT) | instid1(VALU_DEP_1)
	v_add_nc_u64_e32 v[22:23], v[26:27], v[22:23]
	v_add_co_u32 v1, vcc_lo, v22, v16
	s_delay_alu instid0(VALU_DEP_2) | instskip(SKIP_1) | instid1(VALU_DEP_1)
	v_add_co_ci_u32_e32 v10, vcc_lo, v23, v17, vcc_lo
	v_add_co_ci_u32_e32 v25, vcc_lo, 0, v25, vcc_lo
	v_add_nc_u64_e32 v[10:11], v[10:11], v[24:25]
	s_delay_alu instid0(VALU_DEP_1) | instskip(NEXT) | instid1(VALU_DEP_1)
	v_mul_u64_e32 v[16:17], s[42:43], v[10:11]
	v_sub_nc_u32_e32 v1, v20, v17
	s_delay_alu instid0(VALU_DEP_2) | instskip(NEXT) | instid1(VALU_DEP_1)
	v_sub_co_u32 v3, vcc_lo, v18, v16
	v_sub_co_ci_u32_e64 v13, null, v20, v17, vcc_lo
	s_delay_alu instid0(VALU_DEP_3) | instskip(NEXT) | instid1(VALU_DEP_3)
	v_subrev_co_ci_u32_e64 v1, null, s43, v1, vcc_lo
	v_sub_co_u32 v5, s0, v3, s42
	v_add_nc_u64_e32 v[16:17], 2, v[10:11]
	s_delay_alu instid0(VALU_DEP_3) | instskip(NEXT) | instid1(VALU_DEP_3)
	v_subrev_co_ci_u32_e64 v1, null, 0, v1, s0
	v_cmp_le_u32_e32 vcc_lo, s42, v5
	v_add_nc_u64_e32 v[18:19], 1, v[10:11]
	v_cndmask_b32_e64 v5, 0, -1, vcc_lo
	s_delay_alu instid0(VALU_DEP_4)
	v_cmp_le_u32_e32 vcc_lo, s43, v1
	v_cndmask_b32_e64 v15, 0, -1, vcc_lo
	v_cmp_le_u32_e32 vcc_lo, s42, v3
	v_cndmask_b32_e64 v3, 0, -1, vcc_lo
	;; [unrolled: 2-line block ×3, first 2 shown]
	v_cmp_eq_u32_e32 vcc_lo, s43, v1
	v_cndmask_b32_e32 v1, v15, v5, vcc_lo
	v_cmp_eq_u32_e32 vcc_lo, s43, v13
	s_delay_alu instid0(VALU_DEP_4) | instskip(NEXT) | instid1(VALU_DEP_3)
	v_cndmask_b32_e32 v3, v20, v3, vcc_lo
	v_cmp_ne_u32_e32 vcc_lo, 0, v1
	s_delay_alu instid0(VALU_DEP_2) | instskip(SKIP_1) | instid1(VALU_DEP_1)
	v_cmp_ne_u32_e64 s0, 0, v3
	v_dual_cndmask_b32 v1, v19, v17, vcc_lo :: v_dual_cndmask_b32 v3, v18, v16, vcc_lo
	v_dual_cndmask_b32 v1, v11, v1, s0 :: v_dual_cndmask_b32 v3, v10, v3, s0
	s_delay_alu instid0(VALU_DEP_1) | instskip(NEXT) | instid1(VALU_DEP_2)
	v_dual_mov_b32 v13, v12 :: v_dual_bitop2_b32 v11, v1, v12 bitop3:0x14
	v_xor_b32_e32 v10, v3, v12
	s_delay_alu instid0(VALU_DEP_1)
	v_sub_nc_u64_e32 v[12:13], v[10:11], v[12:13]
.LBB4_46:
	s_and_not1_saveexec_b32 s0, s1
	s_cbranch_execz .LBB4_48
; %bb.47:
	v_cvt_f32_u32_e32 v1, s12
	s_sub_co_i32 s1, 0, s12
	v_mov_b32_e32 v13, 0
	s_delay_alu instid0(VALU_DEP_2) | instskip(SKIP_1) | instid1(TRANS32_DEP_1)
	v_rcp_iflag_f32_e32 v1, v1
	v_nop
	v_mul_f32_e32 v1, 0x4f7ffffe, v1
	s_delay_alu instid0(VALU_DEP_1) | instskip(NEXT) | instid1(VALU_DEP_1)
	v_cvt_u32_f32_e32 v1, v1
	v_mul_lo_u32 v3, s1, v1
	s_delay_alu instid0(VALU_DEP_1) | instskip(NEXT) | instid1(VALU_DEP_1)
	v_mul_hi_u32 v3, v1, v3
	v_add_nc_u32_e32 v1, v1, v3
	s_delay_alu instid0(VALU_DEP_1) | instskip(NEXT) | instid1(VALU_DEP_1)
	v_mul_hi_u32 v1, v6, v1
	v_mul_lo_u32 v3, v1, s12
	s_delay_alu instid0(VALU_DEP_1) | instskip(NEXT) | instid1(VALU_DEP_1)
	v_sub_nc_u32_e32 v3, v6, v3
	v_subrev_nc_u32_e32 v10, s12, v3
	v_cmp_le_u32_e32 vcc_lo, s12, v3
	s_delay_alu instid0(VALU_DEP_2) | instskip(NEXT) | instid1(VALU_DEP_1)
	v_dual_add_nc_u32 v5, 1, v1 :: v_dual_cndmask_b32 v3, v3, v10, vcc_lo
	v_cndmask_b32_e32 v1, v1, v5, vcc_lo
	s_delay_alu instid0(VALU_DEP_2) | instskip(NEXT) | instid1(VALU_DEP_2)
	v_cmp_le_u32_e32 vcc_lo, s12, v3
	v_add_nc_u32_e32 v5, 1, v1
	s_delay_alu instid0(VALU_DEP_1)
	v_cndmask_b32_e32 v12, v1, v5, vcc_lo
.LBB4_48:
	s_or_b32 exec_lo, exec_lo, s0
	v_mul_u64_e32 v[16:17], s[12:13], v[8:9]
	s_delay_alu instid0(VALU_DEP_2) | instskip(SKIP_2) | instid1(VALU_DEP_2)
	v_min_i64 v[10:11], v[12:13], s[2:3]
	s_mov_b32 s14, 0
	s_mov_b32 s15, exec_lo
	v_add_nc_u64_e32 v[12:13], s[10:11], v[16:17]
	v_cmp_gt_i64_e32 vcc_lo, v[16:17], v[6:7]
	s_delay_alu instid0(VALU_DEP_2) | instskip(SKIP_2) | instid1(SALU_CYCLE_1)
	v_cmp_ge_i64_e64 s0, v[6:7], v[12:13]
	v_mov_b32_e32 v13, s14
	s_or_b32 s0, vcc_lo, s0
	v_cndmask_b32_e64 v12, 0, 1, s0
	s_delay_alu instid0(VALU_DEP_1) | instskip(NEXT) | instid1(VALU_DEP_1)
	v_add_nc_u64_e32 v[8:9], v[8:9], v[12:13]
	v_cmpx_le_i64_e64 v[8:9], v[10:11]
	s_cbranch_execz .LBB4_51
; %bb.49:
	global_load_u16 v1, v2, s[4:5]
	v_mul_u64_e32 v[12:13], s[12:13], v[8:9]
	v_mov_b32_e32 v3, 0
	s_mul_u64 s[0:1], s[12:13], s[18:19]
	s_lshl_b64 s[42:43], s[16:17], 1
	s_lshl_b64 s[0:1], s[0:1], 1
	s_delay_alu instid0(VALU_DEP_1) | instskip(SKIP_3) | instid1(VALU_DEP_4)
	v_mov_b32_e32 v5, v3
	s_wait_xcnt 0x0
	v_add_nc_u64_e32 v[2:3], s[4:5], v[2:3]
	s_sub_nc_u64 s[0:1], s[42:43], s[0:1]
	v_sub_nc_u64_e32 v[6:7], v[6:7], v[12:13]
	v_mul_u64_e32 v[12:13], s[16:17], v[8:9]
	s_delay_alu instid0(VALU_DEP_2) | instskip(NEXT) | instid1(VALU_DEP_2)
	v_mul_u64_e32 v[6:7], s[18:19], v[6:7]
	v_lshlrev_b64_e32 v[12:13], 1, v[12:13]
	s_delay_alu instid0(VALU_DEP_1) | instskip(NEXT) | instid1(VALU_DEP_1)
	v_lshl_add_u64 v[6:7], v[6:7], 1, v[12:13]
	v_add_nc_u64_e32 v[6:7], v[6:7], v[4:5]
	v_add_nc_u64_e32 v[4:5], -1, v[8:9]
	s_delay_alu instid0(VALU_DEP_2)
	v_add_nc_u64_e32 v[6:7], s[6:7], v[6:7]
.LBB4_50:                               ; =>This Inner Loop Header: Depth=1
	global_load_u16 v8, v[6:7], off
	v_add_nc_u64_e32 v[4:5], 1, v[4:5]
	s_wait_xcnt 0x0
	v_add_nc_u64_e32 v[6:7], s[0:1], v[6:7]
	s_delay_alu instid0(VALU_DEP_2)
	v_cmp_ge_i64_e32 vcc_lo, v[4:5], v[10:11]
	s_or_b32 s14, vcc_lo, s14
	s_wait_loadcnt 0x0
	v_add_nc_u16 v1, v8, v1
	global_store_b16 v[2:3], v1, off
	s_wait_xcnt 0x0
	s_and_not1_b32 exec_lo, exec_lo, s14
	s_cbranch_execnz .LBB4_50
.LBB4_51:
	s_or_b32 exec_lo, exec_lo, s15
	v_add_nc_u32_e32 v0, 0x100, v0
	s_or_b32 exec_lo, exec_lo, s29
	s_delay_alu instid0(SALU_CYCLE_1) | instskip(NEXT) | instid1(VALU_DEP_1)
	s_mov_b32 s29, exec_lo
	v_cmpx_gt_i32_e64 s31, v0
	s_cbranch_execz .LBB4_3
.LBB4_52:
	v_cmp_ne_u32_e32 vcc_lo, 1, v14
	s_cbranch_vccnz .LBB4_59
; %bb.53:
	v_dual_mov_b32 v3, 0 :: v_dual_mov_b32 v4, 0
	v_mov_b32_e32 v2, 0
	s_and_not1_b32 vcc_lo, exec_lo, s33
	s_cbranch_vccnz .LBB4_58
; %bb.54:
	v_dual_mov_b32 v2, 0 :: v_dual_mov_b32 v1, v0
	v_dual_mov_b32 v4, 0 :: v_dual_mov_b32 v3, 0
	s_add_co_i32 s14, s22, 1
	s_mov_b64 s[0:1], 0xffffffffffffffe8
	s_and_b32 s14, s14, 30
	s_add_nc_u64 s[0:1], s[40:41], s[0:1]
.LBB4_55:                               ; =>This Inner Loop Header: Depth=1
	s_clause 0x1
	s_load_b128 s[44:47], s[0:1], 0x1c
	s_load_b64 s[42:43], s[0:1], 0x2c
	s_add_co_i32 s14, s14, -2
	s_delay_alu instid0(SALU_CYCLE_1) | instskip(SKIP_2) | instid1(VALU_DEP_1)
	s_cmp_eq_u32 s14, 0
	s_wait_kmcnt 0x0
	v_mul_hi_u32 v5, s45, v1
	v_add_nc_u32_e32 v5, v1, v5
	s_delay_alu instid0(VALU_DEP_1) | instskip(NEXT) | instid1(VALU_DEP_1)
	v_lshrrev_b32_e32 v5, s46, v5
	v_mul_hi_u32 v6, s42, v5
	v_mul_lo_u32 v7, v5, s44
	s_clause 0x1
	s_load_b128 s[48:51], s[0:1], 0xdc
	s_load_b64 s[44:45], s[0:1], 0xec
	s_wait_xcnt 0x0
	s_add_nc_u64 s[0:1], s[0:1], 24
	s_delay_alu instid0(VALU_DEP_2) | instskip(NEXT) | instid1(VALU_DEP_1)
	v_add_nc_u32_e32 v6, v5, v6
	v_dual_sub_nc_u32 v7, v1, v7 :: v_dual_lshrrev_b32 v1, s43, v6
	s_wait_kmcnt 0x0
	s_delay_alu instid0(VALU_DEP_1) | instskip(NEXT) | instid1(VALU_DEP_2)
	v_mad_u32 v2, v7, s48, v2
	v_mul_lo_u32 v6, v1, s47
	v_mad_u32 v3, v7, s50, v3
	v_mad_u32 v4, v7, s49, v4
	s_delay_alu instid0(VALU_DEP_3) | instskip(NEXT) | instid1(VALU_DEP_1)
	v_sub_nc_u32_e32 v5, v5, v6
	v_mad_u32 v2, v5, s51, v2
	s_delay_alu instid0(VALU_DEP_4) | instskip(NEXT) | instid1(VALU_DEP_4)
	v_mad_u32 v3, v5, s45, v3
	v_mad_u32 v4, v5, s44, v4
	s_cbranch_scc0 .LBB4_55
; %bb.56:
	s_bitcmp1_b32 s22, 0
	s_cselect_b32 s14, -1, 0
	s_delay_alu instid0(SALU_CYCLE_1)
	s_and_b32 vcc_lo, exec_lo, s14
	s_cbranch_vccnz .LBB4_58
; %bb.57:
	s_clause 0x1
	s_load_b96 s[44:46], s[0:1], 0x1c
	s_load_b96 s[48:50], s[0:1], 0xdc
	s_wait_kmcnt 0x0
	v_mul_hi_u32 v5, s45, v1
	s_delay_alu instid0(VALU_DEP_1) | instskip(NEXT) | instid1(VALU_DEP_1)
	v_add_nc_u32_e32 v5, v1, v5
	v_lshrrev_b32_e32 v5, s46, v5
	s_delay_alu instid0(VALU_DEP_1) | instskip(NEXT) | instid1(VALU_DEP_1)
	v_mul_lo_u32 v5, v5, s44
	v_sub_nc_u32_e32 v1, v1, v5
	s_delay_alu instid0(VALU_DEP_1)
	v_mad_u32 v2, v1, s48, v2
	v_mad_u32 v4, v1, s49, v4
	;; [unrolled: 1-line block ×3, first 2 shown]
.LBB4_58:
	s_cbranch_execz .LBB4_60
	s_branch .LBB4_62
.LBB4_59:
                                        ; implicit-def: $vgpr3
                                        ; implicit-def: $vgpr4
                                        ; implicit-def: $vgpr2
.LBB4_60:
	v_mov_b32_e32 v1, 0
	s_and_not1_b32 vcc_lo, exec_lo, s20
	s_delay_alu instid0(VALU_DEP_1) | instskip(NEXT) | instid1(VALU_DEP_1)
	v_mul_u64_e32 v[2:3], s[36:37], v[0:1]
	v_add_nc_u32_e32 v2, v0, v3
	s_delay_alu instid0(VALU_DEP_1) | instskip(NEXT) | instid1(VALU_DEP_1)
	v_lshrrev_b32_e32 v6, s23, v2
	v_mul_lo_u32 v2, v6, s21
	s_delay_alu instid0(VALU_DEP_1) | instskip(NEXT) | instid1(VALU_DEP_1)
	v_sub_nc_u32_e32 v4, v0, v2
	v_mul_lo_u32 v2, v4, s24
	v_mul_lo_u32 v3, v4, s26
	;; [unrolled: 1-line block ×3, first 2 shown]
	s_cbranch_vccnz .LBB4_62
; %bb.61:
	v_mov_b32_e32 v7, v1
	s_delay_alu instid0(VALU_DEP_1) | instskip(NEXT) | instid1(VALU_DEP_1)
	v_mul_u64_e32 v[8:9], s[38:39], v[6:7]
	v_add_nc_u32_e32 v1, v6, v9
	s_delay_alu instid0(VALU_DEP_1) | instskip(NEXT) | instid1(VALU_DEP_1)
	v_lshrrev_b32_e32 v1, s30, v1
	v_mul_lo_u32 v1, v1, s28
	s_delay_alu instid0(VALU_DEP_1) | instskip(NEXT) | instid1(VALU_DEP_1)
	v_sub_nc_u32_e32 v1, v6, v1
	v_mad_u32 v2, v1, s27, v2
	v_mad_u32 v4, v1, s34, v4
	;; [unrolled: 1-line block ×3, first 2 shown]
.LBB4_62:
	global_load_b64 v[6:7], v3, s[8:9]
	v_mov_b64_e32 v[8:9], 0
	s_mov_b32 s1, exec_lo
	s_wait_loadcnt 0x0
	v_cmpx_lt_i64_e64 s[10:11], v[6:7]
	s_cbranch_execz .LBB4_68
; %bb.63:
	v_sub_nc_u64_e64 v[12:13], v[6:7], s[10:11]
                                        ; implicit-def: $vgpr8_vgpr9
	s_mov_b32 s0, exec_lo
	s_delay_alu instid0(VALU_DEP_1) | instskip(NEXT) | instid1(VALU_DEP_1)
	v_dual_mov_b32 v10, 0 :: v_dual_bitop2_b32 v11, s13, v13 bitop3:0x54
	v_cmpx_ne_u64_e32 0, v[10:11]
	s_xor_b32 s44, exec_lo, s0
	s_cbranch_execz .LBB4_65
; %bb.64:
	s_ashr_i32 s14, s13, 31
	s_mov_b32 s53, 0
	s_mov_b32 s15, s14
	v_dual_mov_b32 v17, v10 :: v_dual_ashrrev_i32 v8, 31, v13
	s_add_nc_u64 s[42:43], s[12:13], s[14:15]
	v_mov_b32_e32 v19, v10
	s_xor_b64 s[42:43], s[42:43], s[14:15]
	s_delay_alu instid0(VALU_DEP_2)
	v_mov_b32_e32 v9, v8
	s_cvt_f32_u32 s0, s42
	s_cvt_f32_u32 s15, s43
	s_sub_nc_u64 s[48:49], 0, s[42:43]
	v_mov_b32_e32 v25, v10
	v_add_nc_u64_e32 v[12:13], v[12:13], v[8:9]
	s_fmamk_f32 s0, s15, 0x4f800000, s0
	v_mov_b32_e32 v11, v10
	s_delay_alu instid0(SALU_CYCLE_2) | instskip(NEXT) | instid1(VALU_DEP_2)
	v_s_rcp_f32 s0, s0
	v_xor_b32_e32 v16, v12, v8
	s_delay_alu instid0(VALU_DEP_3) | instskip(SKIP_1) | instid1(TRANS32_DEP_1)
	v_xor_b32_e32 v18, v13, v8
	v_xor_b32_e32 v8, s14, v8
	s_mul_f32 s0, s0, 0x5f7ffffc
	s_delay_alu instid0(SALU_CYCLE_3) | instskip(NEXT) | instid1(SALU_CYCLE_3)
	s_mul_f32 s15, s0, 0x2f800000
	s_trunc_f32 s15, s15
	s_delay_alu instid0(SALU_CYCLE_3) | instskip(SKIP_1) | instid1(SALU_CYCLE_2)
	s_fmamk_f32 s0, s15, 0xcf800000, s0
	s_cvt_u32_f32 s47, s15
	s_cvt_u32_f32 s46, s0
	s_delay_alu instid0(SALU_CYCLE_3) | instskip(NEXT) | instid1(SALU_CYCLE_1)
	s_mul_u64 s[50:51], s[48:49], s[46:47]
	s_mul_hi_u32 s55, s46, s51
	s_mul_i32 s54, s46, s51
	s_mul_hi_u32 s52, s46, s50
	s_mul_i32 s15, s47, s50
	s_add_nc_u64 s[54:55], s[52:53], s[54:55]
	s_mul_hi_u32 s0, s47, s50
	s_mul_hi_u32 s45, s47, s51
	s_add_co_u32 s15, s54, s15
	s_add_co_ci_u32 s52, s55, s0
	s_mul_i32 s50, s47, s51
	s_add_co_ci_u32 s51, s45, 0
	s_delay_alu instid0(SALU_CYCLE_1) | instskip(NEXT) | instid1(SALU_CYCLE_1)
	s_add_nc_u64 s[50:51], s[52:53], s[50:51]
	s_add_co_u32 s46, s46, s50
	s_cselect_b32 s0, -1, 0
	s_delay_alu instid0(SALU_CYCLE_1) | instskip(SKIP_1) | instid1(SALU_CYCLE_1)
	s_cmp_lg_u32 s0, 0
	s_add_co_ci_u32 s47, s47, s51
	s_mul_u64 s[48:49], s[48:49], s[46:47]
	s_delay_alu instid0(SALU_CYCLE_1)
	s_mul_hi_u32 s51, s46, s49
	s_mul_i32 s50, s46, s49
	s_mul_hi_u32 s52, s46, s48
	s_mul_i32 s15, s47, s48
	s_add_nc_u64 s[50:51], s[52:53], s[50:51]
	s_mul_hi_u32 s0, s47, s48
	s_mul_hi_u32 s45, s47, s49
	s_add_co_u32 s15, s50, s15
	s_add_co_ci_u32 s52, s51, s0
	s_mul_i32 s48, s47, s49
	s_add_co_ci_u32 s49, s45, 0
	s_delay_alu instid0(SALU_CYCLE_1) | instskip(NEXT) | instid1(SALU_CYCLE_1)
	s_add_nc_u64 s[48:49], s[52:53], s[48:49]
	s_add_co_u32 s0, s46, s48
	s_cselect_b32 s15, -1, 0
	v_mul_hi_u32 v24, v16, s0
	s_cmp_lg_u32 s15, 0
	s_add_co_ci_u32 s52, s47, s49
	s_mov_b64 s[46:47], 0xffffffff
	v_mul_u64_e32 v[20:21], s[52:53], v[16:17]
	s_and_b64 s[46:47], s[0:1], s[46:47]
	v_mul_u64_e32 v[22:23], s[52:53], v[18:19]
	v_mul_u64_e32 v[12:13], s[46:47], v[18:19]
	s_delay_alu instid0(VALU_DEP_3) | instskip(NEXT) | instid1(VALU_DEP_1)
	v_add_nc_u64_e32 v[20:21], v[24:25], v[20:21]
	v_add_co_u32 v1, vcc_lo, v20, v12
	s_delay_alu instid0(VALU_DEP_2) | instskip(SKIP_1) | instid1(VALU_DEP_1)
	v_add_co_ci_u32_e32 v10, vcc_lo, v21, v13, vcc_lo
	v_add_co_ci_u32_e32 v23, vcc_lo, 0, v23, vcc_lo
	v_add_nc_u64_e32 v[10:11], v[10:11], v[22:23]
	s_delay_alu instid0(VALU_DEP_1) | instskip(NEXT) | instid1(VALU_DEP_1)
	v_mul_u64_e32 v[12:13], s[42:43], v[10:11]
	v_sub_nc_u32_e32 v1, v18, v13
	s_delay_alu instid0(VALU_DEP_2) | instskip(NEXT) | instid1(VALU_DEP_1)
	v_sub_co_u32 v3, vcc_lo, v16, v12
	v_sub_co_ci_u32_e64 v9, null, v18, v13, vcc_lo
	s_delay_alu instid0(VALU_DEP_3) | instskip(NEXT) | instid1(VALU_DEP_3)
	v_subrev_co_ci_u32_e64 v1, null, s43, v1, vcc_lo
	v_sub_co_u32 v5, s0, v3, s42
	v_add_nc_u64_e32 v[16:17], 1, v[10:11]
	s_delay_alu instid0(VALU_DEP_3) | instskip(NEXT) | instid1(VALU_DEP_3)
	v_subrev_co_ci_u32_e64 v1, null, 0, v1, s0
	v_cmp_le_u32_e32 vcc_lo, s42, v5
	v_cndmask_b32_e64 v5, 0, -1, vcc_lo
	s_delay_alu instid0(VALU_DEP_3)
	v_cmp_le_u32_e32 vcc_lo, s43, v1
	v_cndmask_b32_e64 v12, 0, -1, vcc_lo
	v_cmp_le_u32_e32 vcc_lo, s42, v3
	v_cndmask_b32_e64 v3, 0, -1, vcc_lo
	;; [unrolled: 2-line block ×3, first 2 shown]
	v_cmp_eq_u32_e32 vcc_lo, s43, v1
	v_cndmask_b32_e32 v1, v12, v5, vcc_lo
	v_cmp_eq_u32_e32 vcc_lo, s43, v9
	v_add_nc_u64_e32 v[12:13], 2, v[10:11]
	v_cndmask_b32_e32 v3, v15, v3, vcc_lo
	s_delay_alu instid0(VALU_DEP_4) | instskip(NEXT) | instid1(VALU_DEP_2)
	v_cmp_ne_u32_e32 vcc_lo, 0, v1
	v_cmp_ne_u32_e64 s0, 0, v3
	s_delay_alu instid0(VALU_DEP_4) | instskip(NEXT) | instid1(VALU_DEP_1)
	v_dual_cndmask_b32 v1, v17, v13, vcc_lo :: v_dual_cndmask_b32 v3, v16, v12, vcc_lo
                                        ; implicit-def: $vgpr12_vgpr13
	v_dual_cndmask_b32 v1, v11, v1, s0 :: v_dual_cndmask_b32 v3, v10, v3, s0
	s_delay_alu instid0(VALU_DEP_1) | instskip(NEXT) | instid1(VALU_DEP_2)
	v_dual_mov_b32 v9, v8 :: v_dual_bitop2_b32 v11, v1, v8 bitop3:0x14
	v_xor_b32_e32 v10, v3, v8
	s_delay_alu instid0(VALU_DEP_1)
	v_sub_nc_u64_e32 v[8:9], v[10:11], v[8:9]
.LBB4_65:
	s_and_not1_saveexec_b32 s0, s44
	s_cbranch_execz .LBB4_67
; %bb.66:
	v_cvt_f32_u32_e32 v1, s12
	s_sub_co_i32 s14, 0, s12
	v_mov_b32_e32 v9, 0
	s_delay_alu instid0(VALU_DEP_2) | instskip(SKIP_1) | instid1(TRANS32_DEP_1)
	v_rcp_iflag_f32_e32 v1, v1
	v_nop
	v_mul_f32_e32 v1, 0x4f7ffffe, v1
	s_delay_alu instid0(VALU_DEP_1) | instskip(NEXT) | instid1(VALU_DEP_1)
	v_cvt_u32_f32_e32 v1, v1
	v_mul_lo_u32 v3, s14, v1
	s_delay_alu instid0(VALU_DEP_1) | instskip(NEXT) | instid1(VALU_DEP_1)
	v_mul_hi_u32 v3, v1, v3
	v_add_nc_u32_e32 v1, v1, v3
	s_delay_alu instid0(VALU_DEP_1) | instskip(NEXT) | instid1(VALU_DEP_1)
	v_mul_hi_u32 v1, v12, v1
	v_mul_lo_u32 v3, v1, s12
	s_delay_alu instid0(VALU_DEP_1) | instskip(NEXT) | instid1(VALU_DEP_1)
	v_sub_nc_u32_e32 v3, v12, v3
	v_subrev_nc_u32_e32 v8, s12, v3
	v_cmp_le_u32_e32 vcc_lo, s12, v3
	s_delay_alu instid0(VALU_DEP_2) | instskip(NEXT) | instid1(VALU_DEP_1)
	v_dual_add_nc_u32 v5, 1, v1 :: v_dual_cndmask_b32 v3, v3, v8, vcc_lo
	v_cndmask_b32_e32 v1, v1, v5, vcc_lo
	s_delay_alu instid0(VALU_DEP_2) | instskip(NEXT) | instid1(VALU_DEP_2)
	v_cmp_le_u32_e32 vcc_lo, s12, v3
	v_add_nc_u32_e32 v5, 1, v1
	s_delay_alu instid0(VALU_DEP_1)
	v_cndmask_b32_e32 v8, v1, v5, vcc_lo
.LBB4_67:
	s_or_b32 exec_lo, exec_lo, s0
.LBB4_68:
	s_delay_alu instid0(SALU_CYCLE_1) | instskip(SKIP_2) | instid1(VALU_DEP_1)
	s_or_b32 exec_lo, exec_lo, s1
	v_dual_mov_b32 v10, 0 :: v_dual_bitop2_b32 v11, s13, v7 bitop3:0x54
                                        ; implicit-def: $vgpr12_vgpr13
	s_mov_b32 s0, exec_lo
	v_cmpx_ne_u64_e32 0, v[10:11]
	s_xor_b32 s1, exec_lo, s0
	s_cbranch_execz .LBB4_70
; %bb.69:
	s_ashr_i32 s14, s13, 31
	s_mov_b32 s51, 0
	s_mov_b32 s15, s14
	v_dual_mov_b32 v19, v10 :: v_dual_ashrrev_i32 v12, 31, v7
	s_add_nc_u64 s[42:43], s[12:13], s[14:15]
	v_mov_b32_e32 v21, v10
	s_xor_b64 s[42:43], s[42:43], s[14:15]
	s_delay_alu instid0(VALU_DEP_2)
	v_mov_b32_e32 v13, v12
	s_cvt_f32_u32 s0, s42
	s_cvt_f32_u32 s15, s43
	s_sub_nc_u64 s[46:47], 0, s[42:43]
	v_mov_b32_e32 v27, v10
	v_add_nc_u64_e32 v[16:17], v[6:7], v[12:13]
	s_fmamk_f32 s0, s15, 0x4f800000, s0
	v_mov_b32_e32 v11, v10
	s_delay_alu instid0(SALU_CYCLE_2) | instskip(NEXT) | instid1(VALU_DEP_2)
	v_s_rcp_f32 s0, s0
	v_xor_b32_e32 v18, v16, v12
	s_delay_alu instid0(VALU_DEP_3) | instskip(SKIP_1) | instid1(TRANS32_DEP_1)
	v_xor_b32_e32 v20, v17, v12
	v_xor_b32_e32 v12, s14, v12
	s_mul_f32 s0, s0, 0x5f7ffffc
	s_delay_alu instid0(SALU_CYCLE_3) | instskip(NEXT) | instid1(SALU_CYCLE_3)
	s_mul_f32 s15, s0, 0x2f800000
	s_trunc_f32 s15, s15
	s_delay_alu instid0(SALU_CYCLE_3) | instskip(SKIP_1) | instid1(SALU_CYCLE_2)
	s_fmamk_f32 s0, s15, 0xcf800000, s0
	s_cvt_u32_f32 s45, s15
	s_cvt_u32_f32 s44, s0
	s_delay_alu instid0(SALU_CYCLE_3) | instskip(NEXT) | instid1(SALU_CYCLE_1)
	s_mul_u64 s[48:49], s[46:47], s[44:45]
	s_mul_hi_u32 s53, s44, s49
	s_mul_i32 s52, s44, s49
	s_mul_hi_u32 s50, s44, s48
	s_mul_i32 s15, s45, s48
	s_add_nc_u64 s[52:53], s[50:51], s[52:53]
	s_mul_hi_u32 s0, s45, s48
	s_mul_hi_u32 s54, s45, s49
	s_add_co_u32 s15, s52, s15
	s_add_co_ci_u32 s50, s53, s0
	s_mul_i32 s48, s45, s49
	s_add_co_ci_u32 s49, s54, 0
	s_delay_alu instid0(SALU_CYCLE_1) | instskip(NEXT) | instid1(SALU_CYCLE_1)
	s_add_nc_u64 s[48:49], s[50:51], s[48:49]
	s_add_co_u32 s44, s44, s48
	s_cselect_b32 s0, -1, 0
	s_delay_alu instid0(SALU_CYCLE_1) | instskip(SKIP_1) | instid1(SALU_CYCLE_1)
	s_cmp_lg_u32 s0, 0
	s_add_co_ci_u32 s45, s45, s49
	s_mul_u64 s[46:47], s[46:47], s[44:45]
	s_delay_alu instid0(SALU_CYCLE_1)
	s_mul_hi_u32 s49, s44, s47
	s_mul_i32 s48, s44, s47
	s_mul_hi_u32 s50, s44, s46
	s_mul_i32 s15, s45, s46
	s_add_nc_u64 s[48:49], s[50:51], s[48:49]
	s_mul_hi_u32 s0, s45, s46
	s_mul_hi_u32 s52, s45, s47
	s_add_co_u32 s15, s48, s15
	s_add_co_ci_u32 s50, s49, s0
	s_mul_i32 s46, s45, s47
	s_add_co_ci_u32 s47, s52, 0
	s_delay_alu instid0(SALU_CYCLE_1) | instskip(NEXT) | instid1(SALU_CYCLE_1)
	s_add_nc_u64 s[46:47], s[50:51], s[46:47]
	s_add_co_u32 s0, s44, s46
	s_cselect_b32 s15, -1, 0
	v_mul_hi_u32 v26, v18, s0
	s_cmp_lg_u32 s15, 0
	s_add_co_ci_u32 s50, s45, s47
	s_mov_b64 s[44:45], 0xffffffff
	v_mul_u64_e32 v[22:23], s[50:51], v[18:19]
	s_and_b64 s[44:45], s[0:1], s[44:45]
	v_mul_u64_e32 v[24:25], s[50:51], v[20:21]
	v_mul_u64_e32 v[16:17], s[44:45], v[20:21]
	s_delay_alu instid0(VALU_DEP_3) | instskip(NEXT) | instid1(VALU_DEP_1)
	v_add_nc_u64_e32 v[22:23], v[26:27], v[22:23]
	v_add_co_u32 v1, vcc_lo, v22, v16
	s_delay_alu instid0(VALU_DEP_2) | instskip(SKIP_1) | instid1(VALU_DEP_1)
	v_add_co_ci_u32_e32 v10, vcc_lo, v23, v17, vcc_lo
	v_add_co_ci_u32_e32 v25, vcc_lo, 0, v25, vcc_lo
	v_add_nc_u64_e32 v[10:11], v[10:11], v[24:25]
	s_delay_alu instid0(VALU_DEP_1) | instskip(NEXT) | instid1(VALU_DEP_1)
	v_mul_u64_e32 v[16:17], s[42:43], v[10:11]
	v_sub_nc_u32_e32 v1, v20, v17
	s_delay_alu instid0(VALU_DEP_2) | instskip(NEXT) | instid1(VALU_DEP_1)
	v_sub_co_u32 v3, vcc_lo, v18, v16
	v_sub_co_ci_u32_e64 v13, null, v20, v17, vcc_lo
	s_delay_alu instid0(VALU_DEP_3) | instskip(NEXT) | instid1(VALU_DEP_3)
	v_subrev_co_ci_u32_e64 v1, null, s43, v1, vcc_lo
	v_sub_co_u32 v5, s0, v3, s42
	v_add_nc_u64_e32 v[16:17], 2, v[10:11]
	s_delay_alu instid0(VALU_DEP_3) | instskip(NEXT) | instid1(VALU_DEP_3)
	v_subrev_co_ci_u32_e64 v1, null, 0, v1, s0
	v_cmp_le_u32_e32 vcc_lo, s42, v5
	v_add_nc_u64_e32 v[18:19], 1, v[10:11]
	v_cndmask_b32_e64 v5, 0, -1, vcc_lo
	s_delay_alu instid0(VALU_DEP_4)
	v_cmp_le_u32_e32 vcc_lo, s43, v1
	v_cndmask_b32_e64 v15, 0, -1, vcc_lo
	v_cmp_le_u32_e32 vcc_lo, s42, v3
	v_cndmask_b32_e64 v3, 0, -1, vcc_lo
	;; [unrolled: 2-line block ×3, first 2 shown]
	v_cmp_eq_u32_e32 vcc_lo, s43, v1
	v_cndmask_b32_e32 v1, v15, v5, vcc_lo
	v_cmp_eq_u32_e32 vcc_lo, s43, v13
	s_delay_alu instid0(VALU_DEP_4) | instskip(NEXT) | instid1(VALU_DEP_3)
	v_cndmask_b32_e32 v3, v20, v3, vcc_lo
	v_cmp_ne_u32_e32 vcc_lo, 0, v1
	s_delay_alu instid0(VALU_DEP_2) | instskip(SKIP_1) | instid1(VALU_DEP_1)
	v_cmp_ne_u32_e64 s0, 0, v3
	v_dual_cndmask_b32 v1, v19, v17, vcc_lo :: v_dual_cndmask_b32 v3, v18, v16, vcc_lo
	v_dual_cndmask_b32 v1, v11, v1, s0 :: v_dual_cndmask_b32 v3, v10, v3, s0
	s_delay_alu instid0(VALU_DEP_1) | instskip(NEXT) | instid1(VALU_DEP_2)
	v_dual_mov_b32 v13, v12 :: v_dual_bitop2_b32 v11, v1, v12 bitop3:0x14
	v_xor_b32_e32 v10, v3, v12
	s_delay_alu instid0(VALU_DEP_1)
	v_sub_nc_u64_e32 v[12:13], v[10:11], v[12:13]
.LBB4_70:
	s_and_not1_saveexec_b32 s0, s1
	s_cbranch_execz .LBB4_72
; %bb.71:
	v_cvt_f32_u32_e32 v1, s12
	s_sub_co_i32 s1, 0, s12
	v_mov_b32_e32 v13, 0
	s_delay_alu instid0(VALU_DEP_2) | instskip(SKIP_1) | instid1(TRANS32_DEP_1)
	v_rcp_iflag_f32_e32 v1, v1
	v_nop
	v_mul_f32_e32 v1, 0x4f7ffffe, v1
	s_delay_alu instid0(VALU_DEP_1) | instskip(NEXT) | instid1(VALU_DEP_1)
	v_cvt_u32_f32_e32 v1, v1
	v_mul_lo_u32 v3, s1, v1
	s_delay_alu instid0(VALU_DEP_1) | instskip(NEXT) | instid1(VALU_DEP_1)
	v_mul_hi_u32 v3, v1, v3
	v_add_nc_u32_e32 v1, v1, v3
	s_delay_alu instid0(VALU_DEP_1) | instskip(NEXT) | instid1(VALU_DEP_1)
	v_mul_hi_u32 v1, v6, v1
	v_mul_lo_u32 v3, v1, s12
	s_delay_alu instid0(VALU_DEP_1) | instskip(NEXT) | instid1(VALU_DEP_1)
	v_sub_nc_u32_e32 v3, v6, v3
	v_subrev_nc_u32_e32 v10, s12, v3
	v_cmp_le_u32_e32 vcc_lo, s12, v3
	s_delay_alu instid0(VALU_DEP_2) | instskip(NEXT) | instid1(VALU_DEP_1)
	v_dual_add_nc_u32 v5, 1, v1 :: v_dual_cndmask_b32 v3, v3, v10, vcc_lo
	v_cndmask_b32_e32 v1, v1, v5, vcc_lo
	s_delay_alu instid0(VALU_DEP_2) | instskip(NEXT) | instid1(VALU_DEP_2)
	v_cmp_le_u32_e32 vcc_lo, s12, v3
	v_add_nc_u32_e32 v5, 1, v1
	s_delay_alu instid0(VALU_DEP_1)
	v_cndmask_b32_e32 v12, v1, v5, vcc_lo
.LBB4_72:
	s_or_b32 exec_lo, exec_lo, s0
	v_mul_u64_e32 v[16:17], s[12:13], v[8:9]
	s_delay_alu instid0(VALU_DEP_2) | instskip(SKIP_2) | instid1(VALU_DEP_2)
	v_min_i64 v[10:11], v[12:13], s[2:3]
	s_mov_b32 s14, 0
	s_mov_b32 s15, exec_lo
	v_add_nc_u64_e32 v[12:13], s[10:11], v[16:17]
	v_cmp_gt_i64_e32 vcc_lo, v[16:17], v[6:7]
	s_delay_alu instid0(VALU_DEP_2) | instskip(SKIP_2) | instid1(SALU_CYCLE_1)
	v_cmp_ge_i64_e64 s0, v[6:7], v[12:13]
	v_mov_b32_e32 v13, s14
	s_or_b32 s0, vcc_lo, s0
	v_cndmask_b32_e64 v12, 0, 1, s0
	s_delay_alu instid0(VALU_DEP_1) | instskip(NEXT) | instid1(VALU_DEP_1)
	v_add_nc_u64_e32 v[8:9], v[8:9], v[12:13]
	v_cmpx_le_i64_e64 v[8:9], v[10:11]
	s_cbranch_execz .LBB4_75
; %bb.73:
	global_load_u16 v1, v2, s[4:5]
	v_mul_u64_e32 v[12:13], s[12:13], v[8:9]
	v_mov_b32_e32 v3, 0
	s_mul_u64 s[0:1], s[12:13], s[18:19]
	s_lshl_b64 s[42:43], s[16:17], 1
	s_lshl_b64 s[0:1], s[0:1], 1
	s_delay_alu instid0(VALU_DEP_1) | instskip(SKIP_3) | instid1(VALU_DEP_4)
	v_mov_b32_e32 v5, v3
	s_wait_xcnt 0x0
	v_add_nc_u64_e32 v[2:3], s[4:5], v[2:3]
	s_sub_nc_u64 s[0:1], s[42:43], s[0:1]
	v_sub_nc_u64_e32 v[6:7], v[6:7], v[12:13]
	v_mul_u64_e32 v[12:13], s[16:17], v[8:9]
	s_delay_alu instid0(VALU_DEP_2) | instskip(NEXT) | instid1(VALU_DEP_2)
	v_mul_u64_e32 v[6:7], s[18:19], v[6:7]
	v_lshlrev_b64_e32 v[12:13], 1, v[12:13]
	s_delay_alu instid0(VALU_DEP_1) | instskip(NEXT) | instid1(VALU_DEP_1)
	v_lshl_add_u64 v[6:7], v[6:7], 1, v[12:13]
	v_add_nc_u64_e32 v[6:7], v[6:7], v[4:5]
	v_add_nc_u64_e32 v[4:5], -1, v[8:9]
	s_delay_alu instid0(VALU_DEP_2)
	v_add_nc_u64_e32 v[6:7], s[6:7], v[6:7]
.LBB4_74:                               ; =>This Inner Loop Header: Depth=1
	global_load_u16 v8, v[6:7], off
	v_add_nc_u64_e32 v[4:5], 1, v[4:5]
	s_wait_xcnt 0x0
	v_add_nc_u64_e32 v[6:7], s[0:1], v[6:7]
	s_delay_alu instid0(VALU_DEP_2)
	v_cmp_ge_i64_e32 vcc_lo, v[4:5], v[10:11]
	s_or_b32 s14, vcc_lo, s14
	s_wait_loadcnt 0x0
	v_add_nc_u16 v1, v8, v1
	global_store_b16 v[2:3], v1, off
	s_wait_xcnt 0x0
	s_and_not1_b32 exec_lo, exec_lo, s14
	s_cbranch_execnz .LBB4_74
.LBB4_75:
	s_or_b32 exec_lo, exec_lo, s15
	v_add_nc_u32_e32 v0, 0x100, v0
	s_or_b32 exec_lo, exec_lo, s29
	s_delay_alu instid0(SALU_CYCLE_1) | instskip(NEXT) | instid1(VALU_DEP_1)
	s_mov_b32 s0, exec_lo
	v_cmpx_gt_i32_e64 s31, v0
	s_cbranch_execz .LBB4_99
.LBB4_76:
	v_cmp_ne_u32_e32 vcc_lo, 1, v14
	s_cbranch_vccnz .LBB4_83
; %bb.77:
	v_dual_mov_b32 v3, 0 :: v_dual_mov_b32 v4, 0
	v_mov_b32_e32 v2, 0
	s_and_not1_b32 vcc_lo, exec_lo, s33
	s_cbranch_vccnz .LBB4_82
; %bb.78:
	v_dual_mov_b32 v2, 0 :: v_dual_mov_b32 v1, v0
	v_dual_mov_b32 v4, 0 :: v_dual_mov_b32 v3, 0
	s_add_co_i32 s14, s22, 1
	s_mov_b64 s[0:1], 0xffffffffffffffe8
	s_and_b32 s14, s14, 30
	s_add_nc_u64 s[0:1], s[40:41], s[0:1]
.LBB4_79:                               ; =>This Inner Loop Header: Depth=1
	s_clause 0x1
	s_load_b128 s[40:43], s[0:1], 0x1c
	s_load_b64 s[48:49], s[0:1], 0x2c
	s_add_co_i32 s14, s14, -2
	s_delay_alu instid0(SALU_CYCLE_1) | instskip(SKIP_2) | instid1(VALU_DEP_1)
	s_cmp_eq_u32 s14, 0
	s_wait_kmcnt 0x0
	v_mul_hi_u32 v5, s41, v1
	v_add_nc_u32_e32 v5, v1, v5
	s_delay_alu instid0(VALU_DEP_1) | instskip(NEXT) | instid1(VALU_DEP_1)
	v_lshrrev_b32_e32 v5, s42, v5
	v_mul_hi_u32 v6, s48, v5
	v_mul_lo_u32 v7, v5, s40
	s_clause 0x1
	s_load_b128 s[44:47], s[0:1], 0xdc
	s_load_b64 s[40:41], s[0:1], 0xec
	s_wait_xcnt 0x0
	s_add_nc_u64 s[0:1], s[0:1], 24
	s_delay_alu instid0(VALU_DEP_2) | instskip(NEXT) | instid1(VALU_DEP_1)
	v_add_nc_u32_e32 v6, v5, v6
	v_dual_sub_nc_u32 v7, v1, v7 :: v_dual_lshrrev_b32 v1, s49, v6
	s_wait_kmcnt 0x0
	s_delay_alu instid0(VALU_DEP_1) | instskip(NEXT) | instid1(VALU_DEP_2)
	v_mad_u32 v2, v7, s44, v2
	v_mul_lo_u32 v6, v1, s43
	v_mad_u32 v3, v7, s46, v3
	v_mad_u32 v4, v7, s45, v4
	s_delay_alu instid0(VALU_DEP_3) | instskip(NEXT) | instid1(VALU_DEP_1)
	v_sub_nc_u32_e32 v5, v5, v6
	v_mad_u32 v2, v5, s47, v2
	s_delay_alu instid0(VALU_DEP_4) | instskip(NEXT) | instid1(VALU_DEP_4)
	v_mad_u32 v3, v5, s41, v3
	v_mad_u32 v4, v5, s40, v4
	s_cbranch_scc0 .LBB4_79
; %bb.80:
	s_bitcmp1_b32 s22, 0
	s_cselect_b32 s14, -1, 0
	s_delay_alu instid0(SALU_CYCLE_1)
	s_and_b32 vcc_lo, exec_lo, s14
	s_cbranch_vccnz .LBB4_82
; %bb.81:
	s_clause 0x1
	s_load_b96 s[40:42], s[0:1], 0x1c
	s_load_b96 s[44:46], s[0:1], 0xdc
	s_wait_kmcnt 0x0
	v_mul_hi_u32 v5, s41, v1
	s_delay_alu instid0(VALU_DEP_1) | instskip(NEXT) | instid1(VALU_DEP_1)
	v_add_nc_u32_e32 v5, v1, v5
	v_lshrrev_b32_e32 v5, s42, v5
	s_delay_alu instid0(VALU_DEP_1) | instskip(NEXT) | instid1(VALU_DEP_1)
	v_mul_lo_u32 v5, v5, s40
	v_sub_nc_u32_e32 v1, v1, v5
	s_delay_alu instid0(VALU_DEP_1)
	v_mad_u32 v2, v1, s44, v2
	v_mad_u32 v4, v1, s45, v4
	;; [unrolled: 1-line block ×3, first 2 shown]
.LBB4_82:
	s_cbranch_execz .LBB4_84
	s_branch .LBB4_86
.LBB4_83:
                                        ; implicit-def: $vgpr3
                                        ; implicit-def: $vgpr4
                                        ; implicit-def: $vgpr2
.LBB4_84:
	v_mov_b32_e32 v1, 0
	s_and_not1_b32 vcc_lo, exec_lo, s20
	s_delay_alu instid0(VALU_DEP_1) | instskip(NEXT) | instid1(VALU_DEP_1)
	v_mul_u64_e32 v[2:3], s[36:37], v[0:1]
	v_add_nc_u32_e32 v2, v0, v3
	s_delay_alu instid0(VALU_DEP_1) | instskip(NEXT) | instid1(VALU_DEP_1)
	v_lshrrev_b32_e32 v6, s23, v2
	v_mul_lo_u32 v2, v6, s21
	s_delay_alu instid0(VALU_DEP_1) | instskip(NEXT) | instid1(VALU_DEP_1)
	v_sub_nc_u32_e32 v0, v0, v2
	v_mul_lo_u32 v2, v0, s24
	v_mul_lo_u32 v3, v0, s26
	;; [unrolled: 1-line block ×3, first 2 shown]
	s_cbranch_vccnz .LBB4_86
; %bb.85:
	v_mov_b32_e32 v7, v1
	s_delay_alu instid0(VALU_DEP_1) | instskip(NEXT) | instid1(VALU_DEP_1)
	v_mul_u64_e32 v[0:1], s[38:39], v[6:7]
	v_add_nc_u32_e32 v0, v6, v1
	s_delay_alu instid0(VALU_DEP_1) | instskip(NEXT) | instid1(VALU_DEP_1)
	v_lshrrev_b32_e32 v0, s30, v0
	v_mul_lo_u32 v0, v0, s28
	s_delay_alu instid0(VALU_DEP_1) | instskip(NEXT) | instid1(VALU_DEP_1)
	v_sub_nc_u32_e32 v0, v6, v0
	v_mad_u32 v2, v0, s27, v2
	v_mad_u32 v4, v0, s34, v4
	;; [unrolled: 1-line block ×3, first 2 shown]
.LBB4_86:
	global_load_b64 v[0:1], v3, s[8:9]
	v_mov_b64_e32 v[6:7], 0
	s_mov_b32 s1, exec_lo
	s_wait_loadcnt 0x0
	v_cmpx_lt_i64_e64 s[10:11], v[0:1]
	s_cbranch_execz .LBB4_92
; %bb.87:
	v_sub_nc_u64_e64 v[10:11], v[0:1], s[10:11]
                                        ; implicit-def: $vgpr6_vgpr7
	s_mov_b32 s0, exec_lo
	s_delay_alu instid0(VALU_DEP_1) | instskip(NEXT) | instid1(VALU_DEP_1)
	v_dual_mov_b32 v8, 0 :: v_dual_bitop2_b32 v9, s13, v11 bitop3:0x54
	v_cmpx_ne_u64_e32 0, v[8:9]
	s_xor_b32 s20, exec_lo, s0
	s_cbranch_execz .LBB4_89
; %bb.88:
	s_ashr_i32 s8, s13, 31
	s_mov_b32 s29, 0
	s_mov_b32 s9, s8
	v_dual_mov_b32 v13, v8 :: v_dual_ashrrev_i32 v6, 31, v11
	s_add_nc_u64 s[14:15], s[12:13], s[8:9]
	v_mov_b32_e32 v15, v8
	s_xor_b64 s[14:15], s[14:15], s[8:9]
	s_delay_alu instid0(VALU_DEP_2)
	v_mov_b32_e32 v7, v6
	s_cvt_f32_u32 s0, s14
	s_cvt_f32_u32 s9, s15
	s_sub_nc_u64 s[24:25], 0, s[14:15]
	v_mov_b32_e32 v21, v8
	v_add_nc_u64_e32 v[10:11], v[10:11], v[6:7]
	s_fmamk_f32 s0, s9, 0x4f800000, s0
	v_mov_b32_e32 v9, v8
	s_delay_alu instid0(SALU_CYCLE_2) | instskip(NEXT) | instid1(VALU_DEP_2)
	v_s_rcp_f32 s0, s0
	v_xor_b32_e32 v12, v10, v6
	s_delay_alu instid0(VALU_DEP_3) | instskip(SKIP_1) | instid1(TRANS32_DEP_1)
	v_xor_b32_e32 v14, v11, v6
	v_xor_b32_e32 v6, s8, v6
	s_mul_f32 s0, s0, 0x5f7ffffc
	s_delay_alu instid0(SALU_CYCLE_3) | instskip(NEXT) | instid1(SALU_CYCLE_3)
	s_mul_f32 s9, s0, 0x2f800000
	s_trunc_f32 s9, s9
	s_delay_alu instid0(SALU_CYCLE_3) | instskip(SKIP_1) | instid1(SALU_CYCLE_2)
	s_fmamk_f32 s0, s9, 0xcf800000, s0
	s_cvt_u32_f32 s23, s9
	s_cvt_u32_f32 s22, s0
	s_delay_alu instid0(SALU_CYCLE_3) | instskip(NEXT) | instid1(SALU_CYCLE_1)
	s_mul_u64 s[26:27], s[24:25], s[22:23]
	s_mul_hi_u32 s31, s22, s27
	s_mul_i32 s30, s22, s27
	s_mul_hi_u32 s28, s22, s26
	s_mul_i32 s9, s23, s26
	s_add_nc_u64 s[30:31], s[28:29], s[30:31]
	s_mul_hi_u32 s0, s23, s26
	s_mul_hi_u32 s21, s23, s27
	s_add_co_u32 s9, s30, s9
	s_add_co_ci_u32 s28, s31, s0
	s_mul_i32 s26, s23, s27
	s_add_co_ci_u32 s27, s21, 0
	s_delay_alu instid0(SALU_CYCLE_1) | instskip(NEXT) | instid1(SALU_CYCLE_1)
	s_add_nc_u64 s[26:27], s[28:29], s[26:27]
	s_add_co_u32 s22, s22, s26
	s_cselect_b32 s0, -1, 0
	s_delay_alu instid0(SALU_CYCLE_1) | instskip(SKIP_1) | instid1(SALU_CYCLE_1)
	s_cmp_lg_u32 s0, 0
	s_add_co_ci_u32 s23, s23, s27
	s_mul_u64 s[24:25], s[24:25], s[22:23]
	s_delay_alu instid0(SALU_CYCLE_1)
	s_mul_hi_u32 s27, s22, s25
	s_mul_i32 s26, s22, s25
	s_mul_hi_u32 s28, s22, s24
	s_mul_i32 s9, s23, s24
	s_add_nc_u64 s[26:27], s[28:29], s[26:27]
	s_mul_hi_u32 s0, s23, s24
	s_mul_hi_u32 s21, s23, s25
	s_add_co_u32 s9, s26, s9
	s_add_co_ci_u32 s28, s27, s0
	s_mul_i32 s24, s23, s25
	s_add_co_ci_u32 s25, s21, 0
	s_delay_alu instid0(SALU_CYCLE_1) | instskip(NEXT) | instid1(SALU_CYCLE_1)
	s_add_nc_u64 s[24:25], s[28:29], s[24:25]
	s_add_co_u32 s0, s22, s24
	s_cselect_b32 s9, -1, 0
	v_mul_hi_u32 v20, v12, s0
	s_cmp_lg_u32 s9, 0
	s_add_co_ci_u32 s28, s23, s25
	s_mov_b64 s[22:23], 0xffffffff
	v_mul_u64_e32 v[16:17], s[28:29], v[12:13]
	s_and_b64 s[22:23], s[0:1], s[22:23]
	v_mul_u64_e32 v[18:19], s[28:29], v[14:15]
	v_mul_u64_e32 v[10:11], s[22:23], v[14:15]
	s_delay_alu instid0(VALU_DEP_3) | instskip(NEXT) | instid1(VALU_DEP_1)
	v_add_nc_u64_e32 v[16:17], v[20:21], v[16:17]
	v_add_co_u32 v3, vcc_lo, v16, v10
	s_delay_alu instid0(VALU_DEP_2) | instskip(SKIP_1) | instid1(VALU_DEP_1)
	v_add_co_ci_u32_e32 v8, vcc_lo, v17, v11, vcc_lo
	v_add_co_ci_u32_e32 v19, vcc_lo, 0, v19, vcc_lo
	v_add_nc_u64_e32 v[8:9], v[8:9], v[18:19]
	s_delay_alu instid0(VALU_DEP_1) | instskip(NEXT) | instid1(VALU_DEP_1)
	v_mul_u64_e32 v[10:11], s[14:15], v[8:9]
	v_sub_nc_u32_e32 v3, v14, v11
	s_delay_alu instid0(VALU_DEP_2) | instskip(NEXT) | instid1(VALU_DEP_1)
	v_sub_co_u32 v5, vcc_lo, v12, v10
	v_sub_co_ci_u32_e64 v14, null, v14, v11, vcc_lo
	s_delay_alu instid0(VALU_DEP_3) | instskip(NEXT) | instid1(VALU_DEP_3)
	v_subrev_co_ci_u32_e64 v3, null, s15, v3, vcc_lo
	v_sub_co_u32 v7, s0, v5, s14
	v_add_nc_u64_e32 v[12:13], 1, v[8:9]
	s_delay_alu instid0(VALU_DEP_3) | instskip(NEXT) | instid1(VALU_DEP_3)
	v_subrev_co_ci_u32_e64 v3, null, 0, v3, s0
	v_cmp_le_u32_e32 vcc_lo, s14, v7
	v_cndmask_b32_e64 v7, 0, -1, vcc_lo
	s_delay_alu instid0(VALU_DEP_3)
	v_cmp_le_u32_e32 vcc_lo, s15, v3
	v_cndmask_b32_e64 v10, 0, -1, vcc_lo
	v_cmp_le_u32_e32 vcc_lo, s14, v5
	v_cndmask_b32_e64 v5, 0, -1, vcc_lo
	;; [unrolled: 2-line block ×3, first 2 shown]
	v_cmp_eq_u32_e32 vcc_lo, s15, v3
	v_cndmask_b32_e32 v3, v10, v7, vcc_lo
	v_cmp_eq_u32_e32 vcc_lo, s15, v14
	v_add_nc_u64_e32 v[10:11], 2, v[8:9]
	v_cndmask_b32_e32 v5, v15, v5, vcc_lo
	s_delay_alu instid0(VALU_DEP_4) | instskip(NEXT) | instid1(VALU_DEP_2)
	v_cmp_ne_u32_e32 vcc_lo, 0, v3
	v_cmp_ne_u32_e64 s0, 0, v5
	s_delay_alu instid0(VALU_DEP_4) | instskip(NEXT) | instid1(VALU_DEP_1)
	v_dual_cndmask_b32 v3, v13, v11, vcc_lo :: v_dual_cndmask_b32 v5, v12, v10, vcc_lo
                                        ; implicit-def: $vgpr10_vgpr11
	v_dual_cndmask_b32 v3, v9, v3, s0 :: v_dual_cndmask_b32 v5, v8, v5, s0
	s_delay_alu instid0(VALU_DEP_1) | instskip(NEXT) | instid1(VALU_DEP_2)
	v_dual_mov_b32 v7, v6 :: v_dual_bitop2_b32 v9, v3, v6 bitop3:0x14
	v_xor_b32_e32 v8, v5, v6
	s_delay_alu instid0(VALU_DEP_1)
	v_sub_nc_u64_e32 v[6:7], v[8:9], v[6:7]
.LBB4_89:
	s_and_not1_saveexec_b32 s0, s20
	s_cbranch_execz .LBB4_91
; %bb.90:
	v_cvt_f32_u32_e32 v3, s12
	s_sub_co_i32 s8, 0, s12
	s_delay_alu instid0(VALU_DEP_1) | instskip(SKIP_1) | instid1(TRANS32_DEP_1)
	v_rcp_iflag_f32_e32 v3, v3
	v_nop
	v_mul_f32_e32 v3, 0x4f7ffffe, v3
	s_delay_alu instid0(VALU_DEP_1) | instskip(NEXT) | instid1(VALU_DEP_1)
	v_cvt_u32_f32_e32 v3, v3
	v_mul_lo_u32 v5, s8, v3
	s_delay_alu instid0(VALU_DEP_1) | instskip(NEXT) | instid1(VALU_DEP_1)
	v_mul_hi_u32 v5, v3, v5
	v_add_nc_u32_e32 v3, v3, v5
	s_delay_alu instid0(VALU_DEP_1) | instskip(NEXT) | instid1(VALU_DEP_1)
	v_mul_hi_u32 v3, v10, v3
	v_mul_lo_u32 v5, v3, s12
	s_delay_alu instid0(VALU_DEP_1) | instskip(NEXT) | instid1(VALU_DEP_1)
	v_dual_add_nc_u32 v6, 1, v3 :: v_dual_sub_nc_u32 v5, v10, v5
	v_subrev_nc_u32_e32 v7, s12, v5
	v_cmp_le_u32_e32 vcc_lo, s12, v5
	s_delay_alu instid0(VALU_DEP_2) | instskip(NEXT) | instid1(VALU_DEP_4)
	v_dual_cndmask_b32 v5, v5, v7, vcc_lo :: v_dual_mov_b32 v7, 0
	v_cndmask_b32_e32 v3, v3, v6, vcc_lo
	s_delay_alu instid0(VALU_DEP_2) | instskip(NEXT) | instid1(VALU_DEP_2)
	v_cmp_le_u32_e32 vcc_lo, s12, v5
	v_add_nc_u32_e32 v6, 1, v3
	s_delay_alu instid0(VALU_DEP_1)
	v_cndmask_b32_e32 v6, v3, v6, vcc_lo
.LBB4_91:
	s_or_b32 exec_lo, exec_lo, s0
.LBB4_92:
	s_delay_alu instid0(SALU_CYCLE_1) | instskip(SKIP_2) | instid1(VALU_DEP_1)
	s_or_b32 exec_lo, exec_lo, s1
	v_dual_mov_b32 v8, 0 :: v_dual_bitop2_b32 v9, s13, v1 bitop3:0x54
                                        ; implicit-def: $vgpr10_vgpr11
	s_mov_b32 s0, exec_lo
	v_cmpx_ne_u64_e32 0, v[8:9]
	s_xor_b32 s1, exec_lo, s0
	s_cbranch_execz .LBB4_94
; %bb.93:
	s_ashr_i32 s8, s13, 31
	s_mov_b32 s27, 0
	s_mov_b32 s9, s8
	v_dual_mov_b32 v15, v8 :: v_dual_ashrrev_i32 v10, 31, v1
	s_add_nc_u64 s[14:15], s[12:13], s[8:9]
	v_dual_mov_b32 v23, v8 :: v_dual_mov_b32 v9, v8
	s_xor_b64 s[14:15], s[14:15], s[8:9]
	s_delay_alu instid0(VALU_DEP_2) | instskip(SKIP_3) | instid1(VALU_DEP_1)
	v_mov_b32_e32 v11, v10
	s_cvt_f32_u32 s0, s14
	s_cvt_f32_u32 s9, s15
	s_sub_nc_u64 s[22:23], 0, s[14:15]
	v_add_nc_u64_e32 v[12:13], v[0:1], v[10:11]
	s_delay_alu instid0(SALU_CYCLE_1) | instskip(SKIP_1) | instid1(SALU_CYCLE_2)
	s_fmamk_f32 s0, s9, 0x4f800000, s0
	v_mov_b32_e32 v17, v8
	v_s_rcp_f32 s0, s0
	s_delay_alu instid0(VALU_DEP_2) | instskip(NEXT) | instid1(VALU_DEP_3)
	v_xor_b32_e32 v14, v12, v10
	v_xor_b32_e32 v16, v13, v10
	v_xor_b32_e32 v10, s8, v10
	s_delay_alu instid0(TRANS32_DEP_1) | instskip(NEXT) | instid1(SALU_CYCLE_3)
	s_mul_f32 s0, s0, 0x5f7ffffc
	s_mul_f32 s9, s0, 0x2f800000
	s_delay_alu instid0(SALU_CYCLE_3) | instskip(NEXT) | instid1(SALU_CYCLE_3)
	s_trunc_f32 s9, s9
	s_fmamk_f32 s0, s9, 0xcf800000, s0
	s_cvt_u32_f32 s21, s9
	s_delay_alu instid0(SALU_CYCLE_2) | instskip(NEXT) | instid1(SALU_CYCLE_3)
	s_cvt_u32_f32 s20, s0
	s_mul_u64 s[24:25], s[22:23], s[20:21]
	s_delay_alu instid0(SALU_CYCLE_1)
	s_mul_hi_u32 s29, s20, s25
	s_mul_i32 s28, s20, s25
	s_mul_hi_u32 s26, s20, s24
	s_mul_i32 s9, s21, s24
	s_add_nc_u64 s[28:29], s[26:27], s[28:29]
	s_mul_hi_u32 s0, s21, s24
	s_mul_hi_u32 s30, s21, s25
	s_add_co_u32 s9, s28, s9
	s_add_co_ci_u32 s26, s29, s0
	s_mul_i32 s24, s21, s25
	s_add_co_ci_u32 s25, s30, 0
	s_delay_alu instid0(SALU_CYCLE_1) | instskip(NEXT) | instid1(SALU_CYCLE_1)
	s_add_nc_u64 s[24:25], s[26:27], s[24:25]
	s_add_co_u32 s20, s20, s24
	s_cselect_b32 s0, -1, 0
	s_delay_alu instid0(SALU_CYCLE_1) | instskip(SKIP_1) | instid1(SALU_CYCLE_1)
	s_cmp_lg_u32 s0, 0
	s_add_co_ci_u32 s21, s21, s25
	s_mul_u64 s[22:23], s[22:23], s[20:21]
	s_delay_alu instid0(SALU_CYCLE_1)
	s_mul_hi_u32 s25, s20, s23
	s_mul_i32 s24, s20, s23
	s_mul_hi_u32 s26, s20, s22
	s_mul_i32 s9, s21, s22
	s_add_nc_u64 s[24:25], s[26:27], s[24:25]
	s_mul_hi_u32 s0, s21, s22
	s_mul_hi_u32 s28, s21, s23
	s_add_co_u32 s9, s24, s9
	s_add_co_ci_u32 s26, s25, s0
	s_mul_i32 s22, s21, s23
	s_add_co_ci_u32 s23, s28, 0
	s_delay_alu instid0(SALU_CYCLE_1) | instskip(NEXT) | instid1(SALU_CYCLE_1)
	s_add_nc_u64 s[22:23], s[26:27], s[22:23]
	s_add_co_u32 s0, s20, s22
	s_cselect_b32 s9, -1, 0
	v_mul_hi_u32 v22, v14, s0
	s_cmp_lg_u32 s9, 0
	s_add_co_ci_u32 s26, s21, s23
	s_mov_b64 s[20:21], 0xffffffff
	v_mul_u64_e32 v[18:19], s[26:27], v[14:15]
	s_and_b64 s[20:21], s[0:1], s[20:21]
	v_mul_u64_e32 v[20:21], s[26:27], v[16:17]
	v_mul_u64_e32 v[12:13], s[20:21], v[16:17]
	s_delay_alu instid0(VALU_DEP_3) | instskip(NEXT) | instid1(VALU_DEP_1)
	v_add_nc_u64_e32 v[18:19], v[22:23], v[18:19]
	v_add_co_u32 v3, vcc_lo, v18, v12
	s_delay_alu instid0(VALU_DEP_2) | instskip(SKIP_1) | instid1(VALU_DEP_1)
	v_add_co_ci_u32_e32 v8, vcc_lo, v19, v13, vcc_lo
	v_add_co_ci_u32_e32 v21, vcc_lo, 0, v21, vcc_lo
	v_add_nc_u64_e32 v[8:9], v[8:9], v[20:21]
	s_delay_alu instid0(VALU_DEP_1) | instskip(NEXT) | instid1(VALU_DEP_1)
	v_mul_u64_e32 v[12:13], s[14:15], v[8:9]
	v_sub_co_u32 v5, vcc_lo, v14, v12
	v_add_nc_u64_e32 v[14:15], 1, v[8:9]
	s_delay_alu instid0(VALU_DEP_3) | instskip(SKIP_1) | instid1(VALU_DEP_4)
	v_sub_nc_u32_e32 v3, v16, v13
	v_sub_co_ci_u32_e64 v16, null, v16, v13, vcc_lo
	v_sub_co_u32 v11, s0, v5, s14
	s_delay_alu instid0(VALU_DEP_3) | instskip(NEXT) | instid1(VALU_DEP_2)
	v_subrev_co_ci_u32_e64 v3, null, s15, v3, vcc_lo
	v_cmp_le_u32_e32 vcc_lo, s14, v11
	s_delay_alu instid0(VALU_DEP_2) | instskip(SKIP_1) | instid1(VALU_DEP_2)
	v_subrev_co_ci_u32_e64 v3, null, 0, v3, s0
	v_cndmask_b32_e64 v11, 0, -1, vcc_lo
	v_cmp_le_u32_e32 vcc_lo, s15, v3
	v_cndmask_b32_e64 v12, 0, -1, vcc_lo
	v_cmp_le_u32_e32 vcc_lo, s14, v5
	;; [unrolled: 2-line block ×3, first 2 shown]
	v_cndmask_b32_e64 v17, 0, -1, vcc_lo
	v_cmp_eq_u32_e32 vcc_lo, s15, v3
	v_cndmask_b32_e32 v3, v12, v11, vcc_lo
	v_cmp_eq_u32_e32 vcc_lo, s15, v16
	v_add_nc_u64_e32 v[12:13], 2, v[8:9]
	v_cndmask_b32_e32 v5, v17, v5, vcc_lo
	s_delay_alu instid0(VALU_DEP_4) | instskip(NEXT) | instid1(VALU_DEP_2)
	v_cmp_ne_u32_e32 vcc_lo, 0, v3
	v_cmp_ne_u32_e64 s0, 0, v5
	s_delay_alu instid0(VALU_DEP_4) | instskip(NEXT) | instid1(VALU_DEP_1)
	v_dual_cndmask_b32 v3, v15, v13, vcc_lo :: v_dual_cndmask_b32 v5, v14, v12, vcc_lo
	v_dual_cndmask_b32 v3, v9, v3, s0 :: v_dual_cndmask_b32 v5, v8, v5, s0
	s_delay_alu instid0(VALU_DEP_1) | instskip(NEXT) | instid1(VALU_DEP_2)
	v_dual_mov_b32 v11, v10 :: v_dual_bitop2_b32 v9, v3, v10 bitop3:0x14
	v_xor_b32_e32 v8, v5, v10
	s_delay_alu instid0(VALU_DEP_1)
	v_sub_nc_u64_e32 v[10:11], v[8:9], v[10:11]
.LBB4_94:
	s_and_not1_saveexec_b32 s0, s1
	s_cbranch_execz .LBB4_96
; %bb.95:
	v_cvt_f32_u32_e32 v3, s12
	s_sub_co_i32 s1, 0, s12
	v_mov_b32_e32 v11, 0
	s_delay_alu instid0(VALU_DEP_2) | instskip(SKIP_1) | instid1(TRANS32_DEP_1)
	v_rcp_iflag_f32_e32 v3, v3
	v_nop
	v_mul_f32_e32 v3, 0x4f7ffffe, v3
	s_delay_alu instid0(VALU_DEP_1) | instskip(NEXT) | instid1(VALU_DEP_1)
	v_cvt_u32_f32_e32 v3, v3
	v_mul_lo_u32 v5, s1, v3
	s_delay_alu instid0(VALU_DEP_1) | instskip(NEXT) | instid1(VALU_DEP_1)
	v_mul_hi_u32 v5, v3, v5
	v_add_nc_u32_e32 v3, v3, v5
	s_delay_alu instid0(VALU_DEP_1) | instskip(NEXT) | instid1(VALU_DEP_1)
	v_mul_hi_u32 v3, v0, v3
	v_mul_lo_u32 v5, v3, s12
	s_delay_alu instid0(VALU_DEP_1) | instskip(NEXT) | instid1(VALU_DEP_1)
	v_sub_nc_u32_e32 v5, v0, v5
	v_subrev_nc_u32_e32 v9, s12, v5
	v_cmp_le_u32_e32 vcc_lo, s12, v5
	s_delay_alu instid0(VALU_DEP_2) | instskip(NEXT) | instid1(VALU_DEP_1)
	v_dual_cndmask_b32 v5, v5, v9 :: v_dual_add_nc_u32 v8, 1, v3
	v_cndmask_b32_e32 v3, v3, v8, vcc_lo
	s_delay_alu instid0(VALU_DEP_2) | instskip(NEXT) | instid1(VALU_DEP_2)
	v_cmp_le_u32_e32 vcc_lo, s12, v5
	v_add_nc_u32_e32 v8, 1, v3
	s_delay_alu instid0(VALU_DEP_1)
	v_cndmask_b32_e32 v10, v3, v8, vcc_lo
.LBB4_96:
	s_or_b32 exec_lo, exec_lo, s0
	v_mul_u64_e32 v[12:13], s[12:13], v[6:7]
	s_delay_alu instid0(VALU_DEP_2) | instskip(SKIP_1) | instid1(VALU_DEP_2)
	v_min_i64 v[8:9], v[10:11], s[2:3]
	s_mov_b32 s2, 0
	v_add_nc_u64_e32 v[10:11], s[10:11], v[12:13]
	v_cmp_gt_i64_e32 vcc_lo, v[12:13], v[0:1]
	s_delay_alu instid0(VALU_DEP_2) | instskip(SKIP_2) | instid1(SALU_CYCLE_1)
	v_cmp_ge_i64_e64 s0, v[0:1], v[10:11]
	v_mov_b32_e32 v11, s2
	s_or_b32 s0, vcc_lo, s0
	v_cndmask_b32_e64 v10, 0, 1, s0
	s_delay_alu instid0(VALU_DEP_1) | instskip(NEXT) | instid1(VALU_DEP_1)
	v_add_nc_u64_e32 v[6:7], v[6:7], v[10:11]
	v_cmp_le_i64_e32 vcc_lo, v[6:7], v[8:9]
	s_and_b32 exec_lo, exec_lo, vcc_lo
	s_cbranch_execz .LBB4_99
; %bb.97:
	global_load_u16 v10, v2, s[4:5]
	v_mul_u64_e32 v[12:13], s[12:13], v[6:7]
	v_mov_b32_e32 v3, 0
	s_mul_u64 s[0:1], s[12:13], s[18:19]
	s_delay_alu instid0(SALU_CYCLE_1) | instskip(NEXT) | instid1(VALU_DEP_1)
	s_lshl_b64 s[0:1], s[0:1], 1
	v_mov_b32_e32 v5, v3
	s_delay_alu instid0(VALU_DEP_3) | instskip(SKIP_1) | instid1(VALU_DEP_2)
	v_sub_nc_u64_e32 v[0:1], v[0:1], v[12:13]
	v_mul_u64_e32 v[12:13], s[16:17], v[6:7]
	v_mul_u64_e32 v[0:1], s[18:19], v[0:1]
	s_delay_alu instid0(VALU_DEP_2) | instskip(NEXT) | instid1(VALU_DEP_1)
	v_lshlrev_b64_e32 v[12:13], 1, v[12:13]
	v_lshl_add_u64 v[0:1], v[0:1], 1, v[12:13]
	s_delay_alu instid0(VALU_DEP_1) | instskip(SKIP_4) | instid1(SALU_CYCLE_1)
	v_add_nc_u64_e32 v[4:5], v[0:1], v[4:5]
	v_add_nc_u64_e32 v[0:1], s[4:5], v[2:3]
	s_wait_xcnt 0x0
	v_add_nc_u64_e32 v[2:3], -1, v[6:7]
	s_lshl_b64 s[4:5], s[16:17], 1
	s_sub_nc_u64 s[0:1], s[4:5], s[0:1]
	s_delay_alu instid0(VALU_DEP_3)
	v_add_nc_u64_e32 v[4:5], s[6:7], v[4:5]
.LBB4_98:                               ; =>This Inner Loop Header: Depth=1
	global_load_u16 v6, v[4:5], off
	v_add_nc_u64_e32 v[2:3], 1, v[2:3]
	s_wait_xcnt 0x0
	v_add_nc_u64_e32 v[4:5], s[0:1], v[4:5]
	s_delay_alu instid0(VALU_DEP_2)
	v_cmp_ge_i64_e32 vcc_lo, v[2:3], v[8:9]
	s_or_b32 s2, vcc_lo, s2
	s_wait_loadcnt 0x0
	v_add_nc_u16 v10, v6, v10
	global_store_b16 v[0:1], v10, off
	s_wait_xcnt 0x0
	s_and_not1_b32 exec_lo, exec_lo, s2
	s_cbranch_execnz .LBB4_98
.LBB4_99:
	s_endpgm
	.section	.rodata,"a",@progbits
	.p2align	6, 0x0
	.amdhsa_kernel _ZN2at6native12_GLOBAL__N_135_unfold_backward_elementwise_kernelILi256ELi4EZNS1_32_unfold_backward_internal_kernelIsEEvRNS_14TensorIteratorEllllllEUliE_EEviT1_
		.amdhsa_group_segment_fixed_size 0
		.amdhsa_private_segment_fixed_size 0
		.amdhsa_kernarg_size 464
		.amdhsa_user_sgpr_count 2
		.amdhsa_user_sgpr_dispatch_ptr 0
		.amdhsa_user_sgpr_queue_ptr 0
		.amdhsa_user_sgpr_kernarg_segment_ptr 1
		.amdhsa_user_sgpr_dispatch_id 0
		.amdhsa_user_sgpr_kernarg_preload_length 0
		.amdhsa_user_sgpr_kernarg_preload_offset 0
		.amdhsa_user_sgpr_private_segment_size 0
		.amdhsa_wavefront_size32 1
		.amdhsa_uses_dynamic_stack 0
		.amdhsa_enable_private_segment 0
		.amdhsa_system_sgpr_workgroup_id_x 1
		.amdhsa_system_sgpr_workgroup_id_y 0
		.amdhsa_system_sgpr_workgroup_id_z 0
		.amdhsa_system_sgpr_workgroup_info 0
		.amdhsa_system_vgpr_workitem_id 0
		.amdhsa_next_free_vgpr 28
		.amdhsa_next_free_sgpr 56
		.amdhsa_named_barrier_count 0
		.amdhsa_reserve_vcc 1
		.amdhsa_float_round_mode_32 0
		.amdhsa_float_round_mode_16_64 0
		.amdhsa_float_denorm_mode_32 3
		.amdhsa_float_denorm_mode_16_64 3
		.amdhsa_fp16_overflow 0
		.amdhsa_memory_ordered 1
		.amdhsa_forward_progress 1
		.amdhsa_inst_pref_size 77
		.amdhsa_round_robin_scheduling 0
		.amdhsa_exception_fp_ieee_invalid_op 0
		.amdhsa_exception_fp_denorm_src 0
		.amdhsa_exception_fp_ieee_div_zero 0
		.amdhsa_exception_fp_ieee_overflow 0
		.amdhsa_exception_fp_ieee_underflow 0
		.amdhsa_exception_fp_ieee_inexact 0
		.amdhsa_exception_int_div_zero 0
	.end_amdhsa_kernel
	.section	.text._ZN2at6native12_GLOBAL__N_135_unfold_backward_elementwise_kernelILi256ELi4EZNS1_32_unfold_backward_internal_kernelIsEEvRNS_14TensorIteratorEllllllEUliE_EEviT1_,"axG",@progbits,_ZN2at6native12_GLOBAL__N_135_unfold_backward_elementwise_kernelILi256ELi4EZNS1_32_unfold_backward_internal_kernelIsEEvRNS_14TensorIteratorEllllllEUliE_EEviT1_,comdat
.Lfunc_end4:
	.size	_ZN2at6native12_GLOBAL__N_135_unfold_backward_elementwise_kernelILi256ELi4EZNS1_32_unfold_backward_internal_kernelIsEEvRNS_14TensorIteratorEllllllEUliE_EEviT1_, .Lfunc_end4-_ZN2at6native12_GLOBAL__N_135_unfold_backward_elementwise_kernelILi256ELi4EZNS1_32_unfold_backward_internal_kernelIsEEvRNS_14TensorIteratorEllllllEUliE_EEviT1_
                                        ; -- End function
	.set _ZN2at6native12_GLOBAL__N_135_unfold_backward_elementwise_kernelILi256ELi4EZNS1_32_unfold_backward_internal_kernelIsEEvRNS_14TensorIteratorEllllllEUliE_EEviT1_.num_vgpr, 28
	.set _ZN2at6native12_GLOBAL__N_135_unfold_backward_elementwise_kernelILi256ELi4EZNS1_32_unfold_backward_internal_kernelIsEEvRNS_14TensorIteratorEllllllEUliE_EEviT1_.num_agpr, 0
	.set _ZN2at6native12_GLOBAL__N_135_unfold_backward_elementwise_kernelILi256ELi4EZNS1_32_unfold_backward_internal_kernelIsEEvRNS_14TensorIteratorEllllllEUliE_EEviT1_.numbered_sgpr, 56
	.set _ZN2at6native12_GLOBAL__N_135_unfold_backward_elementwise_kernelILi256ELi4EZNS1_32_unfold_backward_internal_kernelIsEEvRNS_14TensorIteratorEllllllEUliE_EEviT1_.num_named_barrier, 0
	.set _ZN2at6native12_GLOBAL__N_135_unfold_backward_elementwise_kernelILi256ELi4EZNS1_32_unfold_backward_internal_kernelIsEEvRNS_14TensorIteratorEllllllEUliE_EEviT1_.private_seg_size, 0
	.set _ZN2at6native12_GLOBAL__N_135_unfold_backward_elementwise_kernelILi256ELi4EZNS1_32_unfold_backward_internal_kernelIsEEvRNS_14TensorIteratorEllllllEUliE_EEviT1_.uses_vcc, 1
	.set _ZN2at6native12_GLOBAL__N_135_unfold_backward_elementwise_kernelILi256ELi4EZNS1_32_unfold_backward_internal_kernelIsEEvRNS_14TensorIteratorEllllllEUliE_EEviT1_.uses_flat_scratch, 0
	.set _ZN2at6native12_GLOBAL__N_135_unfold_backward_elementwise_kernelILi256ELi4EZNS1_32_unfold_backward_internal_kernelIsEEvRNS_14TensorIteratorEllllllEUliE_EEviT1_.has_dyn_sized_stack, 0
	.set _ZN2at6native12_GLOBAL__N_135_unfold_backward_elementwise_kernelILi256ELi4EZNS1_32_unfold_backward_internal_kernelIsEEvRNS_14TensorIteratorEllllllEUliE_EEviT1_.has_recursion, 0
	.set _ZN2at6native12_GLOBAL__N_135_unfold_backward_elementwise_kernelILi256ELi4EZNS1_32_unfold_backward_internal_kernelIsEEvRNS_14TensorIteratorEllllllEUliE_EEviT1_.has_indirect_call, 0
	.section	.AMDGPU.csdata,"",@progbits
; Kernel info:
; codeLenInByte = 9732
; TotalNumSgprs: 58
; NumVgprs: 28
; ScratchSize: 0
; MemoryBound: 0
; FloatMode: 240
; IeeeMode: 1
; LDSByteSize: 0 bytes/workgroup (compile time only)
; SGPRBlocks: 0
; VGPRBlocks: 1
; NumSGPRsForWavesPerEU: 58
; NumVGPRsForWavesPerEU: 28
; NamedBarCnt: 0
; Occupancy: 16
; WaveLimiterHint : 1
; COMPUTE_PGM_RSRC2:SCRATCH_EN: 0
; COMPUTE_PGM_RSRC2:USER_SGPR: 2
; COMPUTE_PGM_RSRC2:TRAP_HANDLER: 0
; COMPUTE_PGM_RSRC2:TGID_X_EN: 1
; COMPUTE_PGM_RSRC2:TGID_Y_EN: 0
; COMPUTE_PGM_RSRC2:TGID_Z_EN: 0
; COMPUTE_PGM_RSRC2:TIDIG_COMP_CNT: 0
	.section	.text._ZN2at6native12_GLOBAL__N_135_unfold_backward_elementwise_kernelILi256ELi4EZNS1_32_unfold_backward_internal_kernelIdEEvRNS_14TensorIteratorEllllllEUliE_EEviT1_,"axG",@progbits,_ZN2at6native12_GLOBAL__N_135_unfold_backward_elementwise_kernelILi256ELi4EZNS1_32_unfold_backward_internal_kernelIdEEvRNS_14TensorIteratorEllllllEUliE_EEviT1_,comdat
	.globl	_ZN2at6native12_GLOBAL__N_135_unfold_backward_elementwise_kernelILi256ELi4EZNS1_32_unfold_backward_internal_kernelIdEEvRNS_14TensorIteratorEllllllEUliE_EEviT1_ ; -- Begin function _ZN2at6native12_GLOBAL__N_135_unfold_backward_elementwise_kernelILi256ELi4EZNS1_32_unfold_backward_internal_kernelIdEEvRNS_14TensorIteratorEllllllEUliE_EEviT1_
	.p2align	8
	.type	_ZN2at6native12_GLOBAL__N_135_unfold_backward_elementwise_kernelILi256ELi4EZNS1_32_unfold_backward_internal_kernelIdEEvRNS_14TensorIteratorEllllllEUliE_EEviT1_,@function
_ZN2at6native12_GLOBAL__N_135_unfold_backward_elementwise_kernelILi256ELi4EZNS1_32_unfold_backward_internal_kernelIdEEvRNS_14TensorIteratorEllllllEUliE_EEviT1_: ; @_ZN2at6native12_GLOBAL__N_135_unfold_backward_elementwise_kernelILi256ELi4EZNS1_32_unfold_backward_internal_kernelIdEEvRNS_14TensorIteratorEllllllEUliE_EEviT1_
; %bb.0:
	s_clause 0x2
	s_load_b128 s[20:23], s[0:1], 0x8
	s_load_b32 s31, s[0:1], 0x0
	s_load_b512 s[4:19], s[0:1], 0x190
	s_bfe_u32 s3, ttmp6, 0x4000c
	s_clause 0x2
	s_load_b96 s[28:30], s[0:1], 0x18
	s_load_b128 s[24:27], s[0:1], 0xcc
	s_load_b64 s[34:35], s[0:1], 0xdc
	s_add_co_i32 s3, s3, 1
	s_and_b32 s2, ttmp6, 15
	s_mul_i32 s3, ttmp9, s3
	s_getreg_b32 s33, hwreg(HW_REG_IB_STS2, 6, 4)
	s_add_co_i32 s2, s2, s3
	s_add_nc_u64 s[40:41], s[0:1], 8
	s_cmp_eq_u32 s33, 0
	s_mov_b32 s37, 0
	s_cselect_b32 s2, ttmp9, s2
	s_mov_b32 s42, -1
	v_lshl_or_b32 v0, s2, 10, v0
	s_mov_b32 s39, s37
	s_wait_kmcnt 0x0
	v_sub_co_u32 v1, s3, s20, 1
	s_mov_b32 s36, s22
	s_xor_b32 s33, s3, -1
	s_mov_b32 s38, s29
	v_readfirstlane_b32 s1, v1
	v_cmp_lt_u32_e32 vcc_lo, 1, v1
	s_add_nc_u64 s[2:3], s[14:15], -1
	s_mov_b32 s29, exec_lo
	s_min_u32 s22, s1, 15
	v_cndmask_b32_e64 v14, 0, 1, vcc_lo
	s_cmp_gt_u32 s20, 1
	s_cselect_b32 s20, -1, 0
	v_cmpx_gt_i32_e64 s31, v0
	s_cbranch_execnz .LBB5_4
; %bb.1:
	s_or_b32 exec_lo, exec_lo, s29
	s_delay_alu instid0(SALU_CYCLE_1)
	s_mov_b32 s29, exec_lo
	v_cmpx_gt_i32_e64 s31, v0
	s_cbranch_execnz .LBB5_28
.LBB5_2:
	s_or_b32 exec_lo, exec_lo, s29
	s_delay_alu instid0(SALU_CYCLE_1)
	s_mov_b32 s29, exec_lo
	v_cmpx_gt_i32_e64 s31, v0
	s_cbranch_execnz .LBB5_52
.LBB5_3:
	s_or_b32 exec_lo, exec_lo, s29
	s_delay_alu instid0(SALU_CYCLE_1)
	s_mov_b32 s0, exec_lo
	v_cmpx_gt_i32_e64 s31, v0
	s_cbranch_execnz .LBB5_76
	s_branch .LBB5_99
.LBB5_4:
	s_and_not1_b32 vcc_lo, exec_lo, vcc_lo
                                        ; implicit-def: $vgpr3
                                        ; implicit-def: $vgpr4
                                        ; implicit-def: $vgpr2
	s_cbranch_vccnz .LBB5_11
; %bb.5:
	v_dual_mov_b32 v3, 0 :: v_dual_mov_b32 v4, 0
	v_mov_b32_e32 v2, 0
	s_and_not1_b32 vcc_lo, exec_lo, s33
	s_cbranch_vccnz .LBB5_10
; %bb.6:
	v_dual_mov_b32 v2, 0 :: v_dual_mov_b32 v1, v0
	v_dual_mov_b32 v4, 0 :: v_dual_mov_b32 v3, 0
	s_add_co_i32 s14, s22, 1
	s_mov_b64 s[0:1], 0xffffffffffffffe8
	s_and_b32 s14, s14, 30
	s_add_nc_u64 s[0:1], s[40:41], s[0:1]
.LBB5_7:                                ; =>This Inner Loop Header: Depth=1
	s_clause 0x1
	s_load_b128 s[44:47], s[0:1], 0x1c
	s_load_b64 s[42:43], s[0:1], 0x2c
	s_add_co_i32 s14, s14, -2
	s_delay_alu instid0(SALU_CYCLE_1) | instskip(SKIP_2) | instid1(VALU_DEP_1)
	s_cmp_lg_u32 s14, 0
	s_wait_kmcnt 0x0
	v_mul_hi_u32 v5, s45, v1
	v_add_nc_u32_e32 v5, v1, v5
	s_delay_alu instid0(VALU_DEP_1) | instskip(NEXT) | instid1(VALU_DEP_1)
	v_lshrrev_b32_e32 v5, s46, v5
	v_mul_hi_u32 v6, s42, v5
	v_mul_lo_u32 v7, v5, s44
	s_clause 0x1
	s_load_b128 s[48:51], s[0:1], 0xdc
	s_load_b64 s[44:45], s[0:1], 0xec
	s_wait_xcnt 0x0
	s_add_nc_u64 s[0:1], s[0:1], 24
	s_delay_alu instid0(VALU_DEP_2) | instskip(NEXT) | instid1(VALU_DEP_1)
	v_add_nc_u32_e32 v6, v5, v6
	v_dual_sub_nc_u32 v7, v1, v7 :: v_dual_lshrrev_b32 v1, s43, v6
	s_wait_kmcnt 0x0
	s_delay_alu instid0(VALU_DEP_1) | instskip(NEXT) | instid1(VALU_DEP_2)
	v_mad_u32 v2, v7, s48, v2
	v_mul_lo_u32 v6, v1, s47
	v_mad_u32 v3, v7, s50, v3
	v_mad_u32 v4, v7, s49, v4
	s_delay_alu instid0(VALU_DEP_3) | instskip(NEXT) | instid1(VALU_DEP_1)
	v_sub_nc_u32_e32 v5, v5, v6
	v_mad_u32 v2, v5, s51, v2
	s_delay_alu instid0(VALU_DEP_4) | instskip(NEXT) | instid1(VALU_DEP_4)
	v_mad_u32 v3, v5, s45, v3
	v_mad_u32 v4, v5, s44, v4
	s_cbranch_scc1 .LBB5_7
; %bb.8:
	s_bitcmp1_b32 s22, 0
	s_cselect_b32 s14, -1, 0
	s_delay_alu instid0(SALU_CYCLE_1)
	s_and_b32 vcc_lo, exec_lo, s14
	s_cbranch_vccnz .LBB5_10
; %bb.9:
	s_clause 0x1
	s_load_b96 s[44:46], s[0:1], 0x1c
	s_load_b96 s[48:50], s[0:1], 0xdc
	s_wait_kmcnt 0x0
	v_mul_hi_u32 v5, s45, v1
	s_delay_alu instid0(VALU_DEP_1) | instskip(NEXT) | instid1(VALU_DEP_1)
	v_add_nc_u32_e32 v5, v1, v5
	v_lshrrev_b32_e32 v5, s46, v5
	s_delay_alu instid0(VALU_DEP_1) | instskip(NEXT) | instid1(VALU_DEP_1)
	v_mul_lo_u32 v5, v5, s44
	v_sub_nc_u32_e32 v1, v1, v5
	s_delay_alu instid0(VALU_DEP_1)
	v_mad_u32 v2, v1, s48, v2
	v_mad_u32 v4, v1, s49, v4
	;; [unrolled: 1-line block ×3, first 2 shown]
.LBB5_10:
	s_mov_b32 s42, 0
.LBB5_11:
	s_delay_alu instid0(SALU_CYCLE_1)
	s_and_not1_b32 vcc_lo, exec_lo, s42
	s_cbranch_vccnz .LBB5_14
; %bb.12:
	v_mov_b32_e32 v1, 0
	s_and_not1_b32 vcc_lo, exec_lo, s20
	s_delay_alu instid0(VALU_DEP_1) | instskip(NEXT) | instid1(VALU_DEP_1)
	v_mul_u64_e32 v[2:3], s[36:37], v[0:1]
	v_add_nc_u32_e32 v2, v0, v3
	s_delay_alu instid0(VALU_DEP_1) | instskip(NEXT) | instid1(VALU_DEP_1)
	v_lshrrev_b32_e32 v6, s23, v2
	v_mul_lo_u32 v2, v6, s21
	s_delay_alu instid0(VALU_DEP_1) | instskip(NEXT) | instid1(VALU_DEP_1)
	v_sub_nc_u32_e32 v4, v0, v2
	v_mul_lo_u32 v2, v4, s24
	v_mul_lo_u32 v3, v4, s26
	;; [unrolled: 1-line block ×3, first 2 shown]
	s_cbranch_vccnz .LBB5_14
; %bb.13:
	v_mov_b32_e32 v7, v1
	s_delay_alu instid0(VALU_DEP_1) | instskip(NEXT) | instid1(VALU_DEP_1)
	v_mul_u64_e32 v[8:9], s[38:39], v[6:7]
	v_add_nc_u32_e32 v1, v6, v9
	s_delay_alu instid0(VALU_DEP_1) | instskip(NEXT) | instid1(VALU_DEP_1)
	v_lshrrev_b32_e32 v1, s30, v1
	v_mul_lo_u32 v1, v1, s28
	s_delay_alu instid0(VALU_DEP_1) | instskip(NEXT) | instid1(VALU_DEP_1)
	v_sub_nc_u32_e32 v1, v6, v1
	v_mad_u32 v2, v1, s27, v2
	v_mad_u32 v4, v1, s34, v4
	;; [unrolled: 1-line block ×3, first 2 shown]
.LBB5_14:
	global_load_b64 v[6:7], v3, s[8:9]
	v_mov_b64_e32 v[8:9], 0
	s_mov_b32 s1, exec_lo
	s_wait_loadcnt 0x0
	v_cmpx_lt_i64_e64 s[10:11], v[6:7]
	s_cbranch_execz .LBB5_20
; %bb.15:
	v_sub_nc_u64_e64 v[12:13], v[6:7], s[10:11]
                                        ; implicit-def: $vgpr8_vgpr9
	s_mov_b32 s0, exec_lo
	s_delay_alu instid0(VALU_DEP_1) | instskip(NEXT) | instid1(VALU_DEP_1)
	v_dual_mov_b32 v10, 0 :: v_dual_bitop2_b32 v11, s13, v13 bitop3:0x54
	v_cmpx_ne_u64_e32 0, v[10:11]
	s_xor_b32 s44, exec_lo, s0
	s_cbranch_execz .LBB5_17
; %bb.16:
	s_ashr_i32 s14, s13, 31
	s_mov_b32 s53, 0
	s_mov_b32 s15, s14
	v_dual_mov_b32 v17, v10 :: v_dual_ashrrev_i32 v8, 31, v13
	s_add_nc_u64 s[42:43], s[12:13], s[14:15]
	v_mov_b32_e32 v19, v10
	s_xor_b64 s[42:43], s[42:43], s[14:15]
	s_delay_alu instid0(VALU_DEP_2)
	v_mov_b32_e32 v9, v8
	s_cvt_f32_u32 s0, s42
	s_cvt_f32_u32 s15, s43
	s_sub_nc_u64 s[48:49], 0, s[42:43]
	v_mov_b32_e32 v25, v10
	v_add_nc_u64_e32 v[12:13], v[12:13], v[8:9]
	s_fmamk_f32 s0, s15, 0x4f800000, s0
	v_mov_b32_e32 v11, v10
	s_delay_alu instid0(SALU_CYCLE_2) | instskip(NEXT) | instid1(VALU_DEP_2)
	v_s_rcp_f32 s0, s0
	v_xor_b32_e32 v16, v12, v8
	s_delay_alu instid0(VALU_DEP_3) | instskip(SKIP_1) | instid1(TRANS32_DEP_1)
	v_xor_b32_e32 v18, v13, v8
	v_xor_b32_e32 v8, s14, v8
	s_mul_f32 s0, s0, 0x5f7ffffc
	s_delay_alu instid0(SALU_CYCLE_3) | instskip(NEXT) | instid1(SALU_CYCLE_3)
	s_mul_f32 s15, s0, 0x2f800000
	s_trunc_f32 s15, s15
	s_delay_alu instid0(SALU_CYCLE_3) | instskip(SKIP_1) | instid1(SALU_CYCLE_2)
	s_fmamk_f32 s0, s15, 0xcf800000, s0
	s_cvt_u32_f32 s47, s15
	s_cvt_u32_f32 s46, s0
	s_delay_alu instid0(SALU_CYCLE_3) | instskip(NEXT) | instid1(SALU_CYCLE_1)
	s_mul_u64 s[50:51], s[48:49], s[46:47]
	s_mul_hi_u32 s55, s46, s51
	s_mul_i32 s54, s46, s51
	s_mul_hi_u32 s52, s46, s50
	s_mul_i32 s15, s47, s50
	s_add_nc_u64 s[54:55], s[52:53], s[54:55]
	s_mul_hi_u32 s0, s47, s50
	s_mul_hi_u32 s45, s47, s51
	s_add_co_u32 s15, s54, s15
	s_add_co_ci_u32 s52, s55, s0
	s_mul_i32 s50, s47, s51
	s_add_co_ci_u32 s51, s45, 0
	s_delay_alu instid0(SALU_CYCLE_1) | instskip(NEXT) | instid1(SALU_CYCLE_1)
	s_add_nc_u64 s[50:51], s[52:53], s[50:51]
	s_add_co_u32 s46, s46, s50
	s_cselect_b32 s0, -1, 0
	s_delay_alu instid0(SALU_CYCLE_1) | instskip(SKIP_1) | instid1(SALU_CYCLE_1)
	s_cmp_lg_u32 s0, 0
	s_add_co_ci_u32 s47, s47, s51
	s_mul_u64 s[48:49], s[48:49], s[46:47]
	s_delay_alu instid0(SALU_CYCLE_1)
	s_mul_hi_u32 s51, s46, s49
	s_mul_i32 s50, s46, s49
	s_mul_hi_u32 s52, s46, s48
	s_mul_i32 s15, s47, s48
	s_add_nc_u64 s[50:51], s[52:53], s[50:51]
	s_mul_hi_u32 s0, s47, s48
	s_mul_hi_u32 s45, s47, s49
	s_add_co_u32 s15, s50, s15
	s_add_co_ci_u32 s52, s51, s0
	s_mul_i32 s48, s47, s49
	s_add_co_ci_u32 s49, s45, 0
	s_delay_alu instid0(SALU_CYCLE_1) | instskip(NEXT) | instid1(SALU_CYCLE_1)
	s_add_nc_u64 s[48:49], s[52:53], s[48:49]
	s_add_co_u32 s0, s46, s48
	s_cselect_b32 s15, -1, 0
	v_mul_hi_u32 v24, v16, s0
	s_cmp_lg_u32 s15, 0
	s_add_co_ci_u32 s52, s47, s49
	s_mov_b64 s[46:47], 0xffffffff
	v_mul_u64_e32 v[20:21], s[52:53], v[16:17]
	s_and_b64 s[46:47], s[0:1], s[46:47]
	v_mul_u64_e32 v[22:23], s[52:53], v[18:19]
	v_mul_u64_e32 v[12:13], s[46:47], v[18:19]
	s_delay_alu instid0(VALU_DEP_3) | instskip(NEXT) | instid1(VALU_DEP_1)
	v_add_nc_u64_e32 v[20:21], v[24:25], v[20:21]
	v_add_co_u32 v1, vcc_lo, v20, v12
	s_delay_alu instid0(VALU_DEP_2) | instskip(SKIP_1) | instid1(VALU_DEP_1)
	v_add_co_ci_u32_e32 v10, vcc_lo, v21, v13, vcc_lo
	v_add_co_ci_u32_e32 v23, vcc_lo, 0, v23, vcc_lo
	v_add_nc_u64_e32 v[10:11], v[10:11], v[22:23]
	s_delay_alu instid0(VALU_DEP_1) | instskip(NEXT) | instid1(VALU_DEP_1)
	v_mul_u64_e32 v[12:13], s[42:43], v[10:11]
	v_sub_nc_u32_e32 v1, v18, v13
	s_delay_alu instid0(VALU_DEP_2) | instskip(NEXT) | instid1(VALU_DEP_1)
	v_sub_co_u32 v3, vcc_lo, v16, v12
	v_sub_co_ci_u32_e64 v9, null, v18, v13, vcc_lo
	s_delay_alu instid0(VALU_DEP_3) | instskip(NEXT) | instid1(VALU_DEP_3)
	v_subrev_co_ci_u32_e64 v1, null, s43, v1, vcc_lo
	v_sub_co_u32 v5, s0, v3, s42
	v_add_nc_u64_e32 v[16:17], 1, v[10:11]
	s_delay_alu instid0(VALU_DEP_3) | instskip(NEXT) | instid1(VALU_DEP_3)
	v_subrev_co_ci_u32_e64 v1, null, 0, v1, s0
	v_cmp_le_u32_e32 vcc_lo, s42, v5
	v_cndmask_b32_e64 v5, 0, -1, vcc_lo
	s_delay_alu instid0(VALU_DEP_3)
	v_cmp_le_u32_e32 vcc_lo, s43, v1
	v_cndmask_b32_e64 v12, 0, -1, vcc_lo
	v_cmp_le_u32_e32 vcc_lo, s42, v3
	v_cndmask_b32_e64 v3, 0, -1, vcc_lo
	;; [unrolled: 2-line block ×3, first 2 shown]
	v_cmp_eq_u32_e32 vcc_lo, s43, v1
	v_cndmask_b32_e32 v1, v12, v5, vcc_lo
	v_cmp_eq_u32_e32 vcc_lo, s43, v9
	v_add_nc_u64_e32 v[12:13], 2, v[10:11]
	v_cndmask_b32_e32 v3, v15, v3, vcc_lo
	s_delay_alu instid0(VALU_DEP_4) | instskip(NEXT) | instid1(VALU_DEP_2)
	v_cmp_ne_u32_e32 vcc_lo, 0, v1
	v_cmp_ne_u32_e64 s0, 0, v3
	s_delay_alu instid0(VALU_DEP_4) | instskip(NEXT) | instid1(VALU_DEP_1)
	v_dual_cndmask_b32 v1, v17, v13, vcc_lo :: v_dual_cndmask_b32 v3, v16, v12, vcc_lo
                                        ; implicit-def: $vgpr12_vgpr13
	v_dual_cndmask_b32 v1, v11, v1, s0 :: v_dual_cndmask_b32 v3, v10, v3, s0
	s_delay_alu instid0(VALU_DEP_1) | instskip(NEXT) | instid1(VALU_DEP_2)
	v_dual_mov_b32 v9, v8 :: v_dual_bitop2_b32 v11, v1, v8 bitop3:0x14
	v_xor_b32_e32 v10, v3, v8
	s_delay_alu instid0(VALU_DEP_1)
	v_sub_nc_u64_e32 v[8:9], v[10:11], v[8:9]
.LBB5_17:
	s_and_not1_saveexec_b32 s0, s44
	s_cbranch_execz .LBB5_19
; %bb.18:
	v_cvt_f32_u32_e32 v1, s12
	s_sub_co_i32 s14, 0, s12
	v_mov_b32_e32 v9, 0
	s_delay_alu instid0(VALU_DEP_2) | instskip(SKIP_1) | instid1(TRANS32_DEP_1)
	v_rcp_iflag_f32_e32 v1, v1
	v_nop
	v_mul_f32_e32 v1, 0x4f7ffffe, v1
	s_delay_alu instid0(VALU_DEP_1) | instskip(NEXT) | instid1(VALU_DEP_1)
	v_cvt_u32_f32_e32 v1, v1
	v_mul_lo_u32 v3, s14, v1
	s_delay_alu instid0(VALU_DEP_1) | instskip(NEXT) | instid1(VALU_DEP_1)
	v_mul_hi_u32 v3, v1, v3
	v_add_nc_u32_e32 v1, v1, v3
	s_delay_alu instid0(VALU_DEP_1) | instskip(NEXT) | instid1(VALU_DEP_1)
	v_mul_hi_u32 v1, v12, v1
	v_mul_lo_u32 v3, v1, s12
	s_delay_alu instid0(VALU_DEP_1) | instskip(NEXT) | instid1(VALU_DEP_1)
	v_sub_nc_u32_e32 v3, v12, v3
	v_subrev_nc_u32_e32 v8, s12, v3
	v_cmp_le_u32_e32 vcc_lo, s12, v3
	s_delay_alu instid0(VALU_DEP_2) | instskip(NEXT) | instid1(VALU_DEP_1)
	v_dual_add_nc_u32 v5, 1, v1 :: v_dual_cndmask_b32 v3, v3, v8, vcc_lo
	v_cndmask_b32_e32 v1, v1, v5, vcc_lo
	s_delay_alu instid0(VALU_DEP_2) | instskip(NEXT) | instid1(VALU_DEP_2)
	v_cmp_le_u32_e32 vcc_lo, s12, v3
	v_add_nc_u32_e32 v5, 1, v1
	s_delay_alu instid0(VALU_DEP_1)
	v_cndmask_b32_e32 v8, v1, v5, vcc_lo
.LBB5_19:
	s_or_b32 exec_lo, exec_lo, s0
.LBB5_20:
	s_delay_alu instid0(SALU_CYCLE_1) | instskip(SKIP_2) | instid1(VALU_DEP_1)
	s_or_b32 exec_lo, exec_lo, s1
	v_dual_mov_b32 v10, 0 :: v_dual_bitop2_b32 v11, s13, v7 bitop3:0x54
                                        ; implicit-def: $vgpr12_vgpr13
	s_mov_b32 s0, exec_lo
	v_cmpx_ne_u64_e32 0, v[10:11]
	s_xor_b32 s1, exec_lo, s0
	s_cbranch_execz .LBB5_22
; %bb.21:
	s_ashr_i32 s14, s13, 31
	s_mov_b32 s51, 0
	s_mov_b32 s15, s14
	v_dual_mov_b32 v19, v10 :: v_dual_ashrrev_i32 v12, 31, v7
	s_add_nc_u64 s[42:43], s[12:13], s[14:15]
	v_mov_b32_e32 v21, v10
	s_xor_b64 s[42:43], s[42:43], s[14:15]
	s_delay_alu instid0(VALU_DEP_2)
	v_mov_b32_e32 v13, v12
	s_cvt_f32_u32 s0, s42
	s_cvt_f32_u32 s15, s43
	s_sub_nc_u64 s[46:47], 0, s[42:43]
	v_mov_b32_e32 v27, v10
	v_add_nc_u64_e32 v[16:17], v[6:7], v[12:13]
	s_fmamk_f32 s0, s15, 0x4f800000, s0
	v_mov_b32_e32 v11, v10
	s_delay_alu instid0(SALU_CYCLE_2) | instskip(NEXT) | instid1(VALU_DEP_2)
	v_s_rcp_f32 s0, s0
	v_xor_b32_e32 v18, v16, v12
	s_delay_alu instid0(VALU_DEP_3) | instskip(SKIP_1) | instid1(TRANS32_DEP_1)
	v_xor_b32_e32 v20, v17, v12
	v_xor_b32_e32 v12, s14, v12
	s_mul_f32 s0, s0, 0x5f7ffffc
	s_delay_alu instid0(SALU_CYCLE_3) | instskip(NEXT) | instid1(SALU_CYCLE_3)
	s_mul_f32 s15, s0, 0x2f800000
	s_trunc_f32 s15, s15
	s_delay_alu instid0(SALU_CYCLE_3) | instskip(SKIP_1) | instid1(SALU_CYCLE_2)
	s_fmamk_f32 s0, s15, 0xcf800000, s0
	s_cvt_u32_f32 s45, s15
	s_cvt_u32_f32 s44, s0
	s_delay_alu instid0(SALU_CYCLE_3) | instskip(NEXT) | instid1(SALU_CYCLE_1)
	s_mul_u64 s[48:49], s[46:47], s[44:45]
	s_mul_hi_u32 s53, s44, s49
	s_mul_i32 s52, s44, s49
	s_mul_hi_u32 s50, s44, s48
	s_mul_i32 s15, s45, s48
	s_add_nc_u64 s[52:53], s[50:51], s[52:53]
	s_mul_hi_u32 s0, s45, s48
	s_mul_hi_u32 s54, s45, s49
	s_add_co_u32 s15, s52, s15
	s_add_co_ci_u32 s50, s53, s0
	s_mul_i32 s48, s45, s49
	s_add_co_ci_u32 s49, s54, 0
	s_delay_alu instid0(SALU_CYCLE_1) | instskip(NEXT) | instid1(SALU_CYCLE_1)
	s_add_nc_u64 s[48:49], s[50:51], s[48:49]
	s_add_co_u32 s44, s44, s48
	s_cselect_b32 s0, -1, 0
	s_delay_alu instid0(SALU_CYCLE_1) | instskip(SKIP_1) | instid1(SALU_CYCLE_1)
	s_cmp_lg_u32 s0, 0
	s_add_co_ci_u32 s45, s45, s49
	s_mul_u64 s[46:47], s[46:47], s[44:45]
	s_delay_alu instid0(SALU_CYCLE_1)
	s_mul_hi_u32 s49, s44, s47
	s_mul_i32 s48, s44, s47
	s_mul_hi_u32 s50, s44, s46
	s_mul_i32 s15, s45, s46
	s_add_nc_u64 s[48:49], s[50:51], s[48:49]
	s_mul_hi_u32 s0, s45, s46
	s_mul_hi_u32 s52, s45, s47
	s_add_co_u32 s15, s48, s15
	s_add_co_ci_u32 s50, s49, s0
	s_mul_i32 s46, s45, s47
	s_add_co_ci_u32 s47, s52, 0
	s_delay_alu instid0(SALU_CYCLE_1) | instskip(NEXT) | instid1(SALU_CYCLE_1)
	s_add_nc_u64 s[46:47], s[50:51], s[46:47]
	s_add_co_u32 s0, s44, s46
	s_cselect_b32 s15, -1, 0
	v_mul_hi_u32 v26, v18, s0
	s_cmp_lg_u32 s15, 0
	s_add_co_ci_u32 s50, s45, s47
	s_mov_b64 s[44:45], 0xffffffff
	v_mul_u64_e32 v[22:23], s[50:51], v[18:19]
	s_and_b64 s[44:45], s[0:1], s[44:45]
	v_mul_u64_e32 v[24:25], s[50:51], v[20:21]
	v_mul_u64_e32 v[16:17], s[44:45], v[20:21]
	s_delay_alu instid0(VALU_DEP_3) | instskip(NEXT) | instid1(VALU_DEP_1)
	v_add_nc_u64_e32 v[22:23], v[26:27], v[22:23]
	v_add_co_u32 v1, vcc_lo, v22, v16
	s_delay_alu instid0(VALU_DEP_2) | instskip(SKIP_1) | instid1(VALU_DEP_1)
	v_add_co_ci_u32_e32 v10, vcc_lo, v23, v17, vcc_lo
	v_add_co_ci_u32_e32 v25, vcc_lo, 0, v25, vcc_lo
	v_add_nc_u64_e32 v[10:11], v[10:11], v[24:25]
	s_delay_alu instid0(VALU_DEP_1) | instskip(NEXT) | instid1(VALU_DEP_1)
	v_mul_u64_e32 v[16:17], s[42:43], v[10:11]
	v_sub_nc_u32_e32 v1, v20, v17
	s_delay_alu instid0(VALU_DEP_2) | instskip(NEXT) | instid1(VALU_DEP_1)
	v_sub_co_u32 v3, vcc_lo, v18, v16
	v_sub_co_ci_u32_e64 v13, null, v20, v17, vcc_lo
	s_delay_alu instid0(VALU_DEP_3) | instskip(NEXT) | instid1(VALU_DEP_3)
	v_subrev_co_ci_u32_e64 v1, null, s43, v1, vcc_lo
	v_sub_co_u32 v5, s0, v3, s42
	v_add_nc_u64_e32 v[16:17], 2, v[10:11]
	s_delay_alu instid0(VALU_DEP_3) | instskip(NEXT) | instid1(VALU_DEP_3)
	v_subrev_co_ci_u32_e64 v1, null, 0, v1, s0
	v_cmp_le_u32_e32 vcc_lo, s42, v5
	v_add_nc_u64_e32 v[18:19], 1, v[10:11]
	v_cndmask_b32_e64 v5, 0, -1, vcc_lo
	s_delay_alu instid0(VALU_DEP_4)
	v_cmp_le_u32_e32 vcc_lo, s43, v1
	v_cndmask_b32_e64 v15, 0, -1, vcc_lo
	v_cmp_le_u32_e32 vcc_lo, s42, v3
	v_cndmask_b32_e64 v3, 0, -1, vcc_lo
	;; [unrolled: 2-line block ×3, first 2 shown]
	v_cmp_eq_u32_e32 vcc_lo, s43, v1
	v_cndmask_b32_e32 v1, v15, v5, vcc_lo
	v_cmp_eq_u32_e32 vcc_lo, s43, v13
	s_delay_alu instid0(VALU_DEP_4) | instskip(NEXT) | instid1(VALU_DEP_3)
	v_cndmask_b32_e32 v3, v20, v3, vcc_lo
	v_cmp_ne_u32_e32 vcc_lo, 0, v1
	s_delay_alu instid0(VALU_DEP_2) | instskip(SKIP_1) | instid1(VALU_DEP_1)
	v_cmp_ne_u32_e64 s0, 0, v3
	v_dual_cndmask_b32 v1, v19, v17, vcc_lo :: v_dual_cndmask_b32 v3, v18, v16, vcc_lo
	v_dual_cndmask_b32 v1, v11, v1, s0 :: v_dual_cndmask_b32 v3, v10, v3, s0
	s_delay_alu instid0(VALU_DEP_1) | instskip(NEXT) | instid1(VALU_DEP_2)
	v_dual_mov_b32 v13, v12 :: v_dual_bitop2_b32 v11, v1, v12 bitop3:0x14
	v_xor_b32_e32 v10, v3, v12
	s_delay_alu instid0(VALU_DEP_1)
	v_sub_nc_u64_e32 v[12:13], v[10:11], v[12:13]
.LBB5_22:
	s_and_not1_saveexec_b32 s0, s1
	s_cbranch_execz .LBB5_24
; %bb.23:
	v_cvt_f32_u32_e32 v1, s12
	s_sub_co_i32 s1, 0, s12
	v_mov_b32_e32 v13, 0
	s_delay_alu instid0(VALU_DEP_2) | instskip(SKIP_1) | instid1(TRANS32_DEP_1)
	v_rcp_iflag_f32_e32 v1, v1
	v_nop
	v_mul_f32_e32 v1, 0x4f7ffffe, v1
	s_delay_alu instid0(VALU_DEP_1) | instskip(NEXT) | instid1(VALU_DEP_1)
	v_cvt_u32_f32_e32 v1, v1
	v_mul_lo_u32 v3, s1, v1
	s_delay_alu instid0(VALU_DEP_1) | instskip(NEXT) | instid1(VALU_DEP_1)
	v_mul_hi_u32 v3, v1, v3
	v_add_nc_u32_e32 v1, v1, v3
	s_delay_alu instid0(VALU_DEP_1) | instskip(NEXT) | instid1(VALU_DEP_1)
	v_mul_hi_u32 v1, v6, v1
	v_mul_lo_u32 v3, v1, s12
	s_delay_alu instid0(VALU_DEP_1) | instskip(NEXT) | instid1(VALU_DEP_1)
	v_sub_nc_u32_e32 v3, v6, v3
	v_subrev_nc_u32_e32 v10, s12, v3
	v_cmp_le_u32_e32 vcc_lo, s12, v3
	s_delay_alu instid0(VALU_DEP_2) | instskip(NEXT) | instid1(VALU_DEP_1)
	v_dual_add_nc_u32 v5, 1, v1 :: v_dual_cndmask_b32 v3, v3, v10, vcc_lo
	v_cndmask_b32_e32 v1, v1, v5, vcc_lo
	s_delay_alu instid0(VALU_DEP_2) | instskip(NEXT) | instid1(VALU_DEP_2)
	v_cmp_le_u32_e32 vcc_lo, s12, v3
	v_add_nc_u32_e32 v5, 1, v1
	s_delay_alu instid0(VALU_DEP_1)
	v_cndmask_b32_e32 v12, v1, v5, vcc_lo
.LBB5_24:
	s_or_b32 exec_lo, exec_lo, s0
	v_mul_u64_e32 v[16:17], s[12:13], v[8:9]
	s_delay_alu instid0(VALU_DEP_2) | instskip(SKIP_2) | instid1(VALU_DEP_2)
	v_min_i64 v[10:11], v[12:13], s[2:3]
	s_mov_b32 s14, 0
	s_mov_b32 s15, exec_lo
	v_add_nc_u64_e32 v[12:13], s[10:11], v[16:17]
	v_cmp_gt_i64_e32 vcc_lo, v[16:17], v[6:7]
	s_delay_alu instid0(VALU_DEP_2) | instskip(SKIP_2) | instid1(SALU_CYCLE_1)
	v_cmp_ge_i64_e64 s0, v[6:7], v[12:13]
	v_mov_b32_e32 v13, s14
	s_or_b32 s0, vcc_lo, s0
	v_cndmask_b32_e64 v12, 0, 1, s0
	s_delay_alu instid0(VALU_DEP_1) | instskip(NEXT) | instid1(VALU_DEP_1)
	v_add_nc_u64_e32 v[12:13], v[8:9], v[12:13]
	v_cmpx_le_i64_e64 v[12:13], v[10:11]
	s_cbranch_execz .LBB5_27
; %bb.25:
	global_load_b64 v[8:9], v2, s[4:5]
	v_mul_u64_e32 v[16:17], s[12:13], v[12:13]
	v_mov_b32_e32 v3, 0
	s_mul_u64 s[0:1], s[12:13], s[18:19]
	s_lshl_b64 s[42:43], s[16:17], 3
	s_lshl_b64 s[0:1], s[0:1], 3
	s_delay_alu instid0(VALU_DEP_1) | instskip(SKIP_3) | instid1(VALU_DEP_4)
	v_mov_b32_e32 v5, v3
	s_wait_xcnt 0x0
	v_add_nc_u64_e32 v[2:3], s[4:5], v[2:3]
	s_sub_nc_u64 s[0:1], s[42:43], s[0:1]
	v_sub_nc_u64_e32 v[6:7], v[6:7], v[16:17]
	v_mul_u64_e32 v[16:17], s[16:17], v[12:13]
	s_delay_alu instid0(VALU_DEP_2) | instskip(NEXT) | instid1(VALU_DEP_2)
	v_mul_u64_e32 v[6:7], s[18:19], v[6:7]
	v_lshlrev_b64_e32 v[16:17], 3, v[16:17]
	s_delay_alu instid0(VALU_DEP_1) | instskip(NEXT) | instid1(VALU_DEP_1)
	v_lshl_add_u64 v[6:7], v[6:7], 3, v[16:17]
	v_add_nc_u64_e32 v[6:7], v[6:7], v[4:5]
	v_add_nc_u64_e32 v[4:5], -1, v[12:13]
	s_delay_alu instid0(VALU_DEP_2)
	v_add_nc_u64_e32 v[6:7], s[6:7], v[6:7]
.LBB5_26:                               ; =>This Inner Loop Header: Depth=1
	global_load_b64 v[12:13], v[6:7], off
	v_add_nc_u64_e32 v[4:5], 1, v[4:5]
	s_wait_xcnt 0x0
	v_add_nc_u64_e32 v[6:7], s[0:1], v[6:7]
	s_delay_alu instid0(VALU_DEP_2)
	v_cmp_ge_i64_e32 vcc_lo, v[4:5], v[10:11]
	s_or_b32 s14, vcc_lo, s14
	s_wait_loadcnt 0x0
	v_add_f64_e32 v[8:9], v[8:9], v[12:13]
	global_store_b64 v[2:3], v[8:9], off
	s_wait_xcnt 0x0
	s_and_not1_b32 exec_lo, exec_lo, s14
	s_cbranch_execnz .LBB5_26
.LBB5_27:
	s_or_b32 exec_lo, exec_lo, s15
	v_add_nc_u32_e32 v0, 0x100, v0
	s_or_b32 exec_lo, exec_lo, s29
	s_delay_alu instid0(SALU_CYCLE_1) | instskip(NEXT) | instid1(VALU_DEP_1)
	s_mov_b32 s29, exec_lo
	v_cmpx_gt_i32_e64 s31, v0
	s_cbranch_execz .LBB5_2
.LBB5_28:
	v_cmp_ne_u32_e32 vcc_lo, 1, v14
	s_cbranch_vccnz .LBB5_35
; %bb.29:
	v_dual_mov_b32 v3, 0 :: v_dual_mov_b32 v4, 0
	v_mov_b32_e32 v2, 0
	s_and_not1_b32 vcc_lo, exec_lo, s33
	s_cbranch_vccnz .LBB5_34
; %bb.30:
	v_dual_mov_b32 v2, 0 :: v_dual_mov_b32 v1, v0
	v_dual_mov_b32 v4, 0 :: v_dual_mov_b32 v3, 0
	s_add_co_i32 s14, s22, 1
	s_mov_b64 s[0:1], 0xffffffffffffffe8
	s_and_b32 s14, s14, 30
	s_add_nc_u64 s[0:1], s[40:41], s[0:1]
.LBB5_31:                               ; =>This Inner Loop Header: Depth=1
	s_clause 0x1
	s_load_b128 s[44:47], s[0:1], 0x1c
	s_load_b64 s[42:43], s[0:1], 0x2c
	s_add_co_i32 s14, s14, -2
	s_delay_alu instid0(SALU_CYCLE_1) | instskip(SKIP_2) | instid1(VALU_DEP_1)
	s_cmp_eq_u32 s14, 0
	s_wait_kmcnt 0x0
	v_mul_hi_u32 v5, s45, v1
	v_add_nc_u32_e32 v5, v1, v5
	s_delay_alu instid0(VALU_DEP_1) | instskip(NEXT) | instid1(VALU_DEP_1)
	v_lshrrev_b32_e32 v5, s46, v5
	v_mul_hi_u32 v6, s42, v5
	v_mul_lo_u32 v7, v5, s44
	s_clause 0x1
	s_load_b128 s[48:51], s[0:1], 0xdc
	s_load_b64 s[44:45], s[0:1], 0xec
	s_wait_xcnt 0x0
	s_add_nc_u64 s[0:1], s[0:1], 24
	s_delay_alu instid0(VALU_DEP_2) | instskip(NEXT) | instid1(VALU_DEP_1)
	v_add_nc_u32_e32 v6, v5, v6
	v_dual_sub_nc_u32 v7, v1, v7 :: v_dual_lshrrev_b32 v1, s43, v6
	s_wait_kmcnt 0x0
	s_delay_alu instid0(VALU_DEP_1) | instskip(NEXT) | instid1(VALU_DEP_2)
	v_mad_u32 v2, v7, s48, v2
	v_mul_lo_u32 v6, v1, s47
	v_mad_u32 v3, v7, s50, v3
	v_mad_u32 v4, v7, s49, v4
	s_delay_alu instid0(VALU_DEP_3) | instskip(NEXT) | instid1(VALU_DEP_1)
	v_sub_nc_u32_e32 v5, v5, v6
	v_mad_u32 v2, v5, s51, v2
	s_delay_alu instid0(VALU_DEP_4) | instskip(NEXT) | instid1(VALU_DEP_4)
	v_mad_u32 v3, v5, s45, v3
	v_mad_u32 v4, v5, s44, v4
	s_cbranch_scc0 .LBB5_31
; %bb.32:
	s_bitcmp1_b32 s22, 0
	s_cselect_b32 s14, -1, 0
	s_delay_alu instid0(SALU_CYCLE_1)
	s_and_b32 vcc_lo, exec_lo, s14
	s_cbranch_vccnz .LBB5_34
; %bb.33:
	s_clause 0x1
	s_load_b96 s[44:46], s[0:1], 0x1c
	s_load_b96 s[48:50], s[0:1], 0xdc
	s_wait_kmcnt 0x0
	v_mul_hi_u32 v5, s45, v1
	s_delay_alu instid0(VALU_DEP_1) | instskip(NEXT) | instid1(VALU_DEP_1)
	v_add_nc_u32_e32 v5, v1, v5
	v_lshrrev_b32_e32 v5, s46, v5
	s_delay_alu instid0(VALU_DEP_1) | instskip(NEXT) | instid1(VALU_DEP_1)
	v_mul_lo_u32 v5, v5, s44
	v_sub_nc_u32_e32 v1, v1, v5
	s_delay_alu instid0(VALU_DEP_1)
	v_mad_u32 v2, v1, s48, v2
	v_mad_u32 v4, v1, s49, v4
	;; [unrolled: 1-line block ×3, first 2 shown]
.LBB5_34:
	s_cbranch_execz .LBB5_36
	s_branch .LBB5_38
.LBB5_35:
                                        ; implicit-def: $vgpr3
                                        ; implicit-def: $vgpr4
                                        ; implicit-def: $vgpr2
.LBB5_36:
	v_mov_b32_e32 v1, 0
	s_and_not1_b32 vcc_lo, exec_lo, s20
	s_delay_alu instid0(VALU_DEP_1) | instskip(NEXT) | instid1(VALU_DEP_1)
	v_mul_u64_e32 v[2:3], s[36:37], v[0:1]
	v_add_nc_u32_e32 v2, v0, v3
	s_delay_alu instid0(VALU_DEP_1) | instskip(NEXT) | instid1(VALU_DEP_1)
	v_lshrrev_b32_e32 v6, s23, v2
	v_mul_lo_u32 v2, v6, s21
	s_delay_alu instid0(VALU_DEP_1) | instskip(NEXT) | instid1(VALU_DEP_1)
	v_sub_nc_u32_e32 v4, v0, v2
	v_mul_lo_u32 v2, v4, s24
	v_mul_lo_u32 v3, v4, s26
	;; [unrolled: 1-line block ×3, first 2 shown]
	s_cbranch_vccnz .LBB5_38
; %bb.37:
	v_mov_b32_e32 v7, v1
	s_delay_alu instid0(VALU_DEP_1) | instskip(NEXT) | instid1(VALU_DEP_1)
	v_mul_u64_e32 v[8:9], s[38:39], v[6:7]
	v_add_nc_u32_e32 v1, v6, v9
	s_delay_alu instid0(VALU_DEP_1) | instskip(NEXT) | instid1(VALU_DEP_1)
	v_lshrrev_b32_e32 v1, s30, v1
	v_mul_lo_u32 v1, v1, s28
	s_delay_alu instid0(VALU_DEP_1) | instskip(NEXT) | instid1(VALU_DEP_1)
	v_sub_nc_u32_e32 v1, v6, v1
	v_mad_u32 v2, v1, s27, v2
	v_mad_u32 v4, v1, s34, v4
	;; [unrolled: 1-line block ×3, first 2 shown]
.LBB5_38:
	global_load_b64 v[6:7], v3, s[8:9]
	v_mov_b64_e32 v[8:9], 0
	s_mov_b32 s1, exec_lo
	s_wait_loadcnt 0x0
	v_cmpx_lt_i64_e64 s[10:11], v[6:7]
	s_cbranch_execz .LBB5_44
; %bb.39:
	v_sub_nc_u64_e64 v[12:13], v[6:7], s[10:11]
                                        ; implicit-def: $vgpr8_vgpr9
	s_mov_b32 s0, exec_lo
	s_delay_alu instid0(VALU_DEP_1) | instskip(NEXT) | instid1(VALU_DEP_1)
	v_dual_mov_b32 v10, 0 :: v_dual_bitop2_b32 v11, s13, v13 bitop3:0x54
	v_cmpx_ne_u64_e32 0, v[10:11]
	s_xor_b32 s44, exec_lo, s0
	s_cbranch_execz .LBB5_41
; %bb.40:
	s_ashr_i32 s14, s13, 31
	s_mov_b32 s53, 0
	s_mov_b32 s15, s14
	v_dual_mov_b32 v17, v10 :: v_dual_ashrrev_i32 v8, 31, v13
	s_add_nc_u64 s[42:43], s[12:13], s[14:15]
	v_mov_b32_e32 v19, v10
	s_xor_b64 s[42:43], s[42:43], s[14:15]
	s_delay_alu instid0(VALU_DEP_2)
	v_mov_b32_e32 v9, v8
	s_cvt_f32_u32 s0, s42
	s_cvt_f32_u32 s15, s43
	s_sub_nc_u64 s[48:49], 0, s[42:43]
	v_mov_b32_e32 v25, v10
	v_add_nc_u64_e32 v[12:13], v[12:13], v[8:9]
	s_fmamk_f32 s0, s15, 0x4f800000, s0
	v_mov_b32_e32 v11, v10
	s_delay_alu instid0(SALU_CYCLE_2) | instskip(NEXT) | instid1(VALU_DEP_2)
	v_s_rcp_f32 s0, s0
	v_xor_b32_e32 v16, v12, v8
	s_delay_alu instid0(VALU_DEP_3) | instskip(SKIP_1) | instid1(TRANS32_DEP_1)
	v_xor_b32_e32 v18, v13, v8
	v_xor_b32_e32 v8, s14, v8
	s_mul_f32 s0, s0, 0x5f7ffffc
	s_delay_alu instid0(SALU_CYCLE_3) | instskip(NEXT) | instid1(SALU_CYCLE_3)
	s_mul_f32 s15, s0, 0x2f800000
	s_trunc_f32 s15, s15
	s_delay_alu instid0(SALU_CYCLE_3) | instskip(SKIP_1) | instid1(SALU_CYCLE_2)
	s_fmamk_f32 s0, s15, 0xcf800000, s0
	s_cvt_u32_f32 s47, s15
	s_cvt_u32_f32 s46, s0
	s_delay_alu instid0(SALU_CYCLE_3) | instskip(NEXT) | instid1(SALU_CYCLE_1)
	s_mul_u64 s[50:51], s[48:49], s[46:47]
	s_mul_hi_u32 s55, s46, s51
	s_mul_i32 s54, s46, s51
	s_mul_hi_u32 s52, s46, s50
	s_mul_i32 s15, s47, s50
	s_add_nc_u64 s[54:55], s[52:53], s[54:55]
	s_mul_hi_u32 s0, s47, s50
	s_mul_hi_u32 s45, s47, s51
	s_add_co_u32 s15, s54, s15
	s_add_co_ci_u32 s52, s55, s0
	s_mul_i32 s50, s47, s51
	s_add_co_ci_u32 s51, s45, 0
	s_delay_alu instid0(SALU_CYCLE_1) | instskip(NEXT) | instid1(SALU_CYCLE_1)
	s_add_nc_u64 s[50:51], s[52:53], s[50:51]
	s_add_co_u32 s46, s46, s50
	s_cselect_b32 s0, -1, 0
	s_delay_alu instid0(SALU_CYCLE_1) | instskip(SKIP_1) | instid1(SALU_CYCLE_1)
	s_cmp_lg_u32 s0, 0
	s_add_co_ci_u32 s47, s47, s51
	s_mul_u64 s[48:49], s[48:49], s[46:47]
	s_delay_alu instid0(SALU_CYCLE_1)
	s_mul_hi_u32 s51, s46, s49
	s_mul_i32 s50, s46, s49
	s_mul_hi_u32 s52, s46, s48
	s_mul_i32 s15, s47, s48
	s_add_nc_u64 s[50:51], s[52:53], s[50:51]
	s_mul_hi_u32 s0, s47, s48
	s_mul_hi_u32 s45, s47, s49
	s_add_co_u32 s15, s50, s15
	s_add_co_ci_u32 s52, s51, s0
	s_mul_i32 s48, s47, s49
	s_add_co_ci_u32 s49, s45, 0
	s_delay_alu instid0(SALU_CYCLE_1) | instskip(NEXT) | instid1(SALU_CYCLE_1)
	s_add_nc_u64 s[48:49], s[52:53], s[48:49]
	s_add_co_u32 s0, s46, s48
	s_cselect_b32 s15, -1, 0
	v_mul_hi_u32 v24, v16, s0
	s_cmp_lg_u32 s15, 0
	s_add_co_ci_u32 s52, s47, s49
	s_mov_b64 s[46:47], 0xffffffff
	v_mul_u64_e32 v[20:21], s[52:53], v[16:17]
	s_and_b64 s[46:47], s[0:1], s[46:47]
	v_mul_u64_e32 v[22:23], s[52:53], v[18:19]
	v_mul_u64_e32 v[12:13], s[46:47], v[18:19]
	s_delay_alu instid0(VALU_DEP_3) | instskip(NEXT) | instid1(VALU_DEP_1)
	v_add_nc_u64_e32 v[20:21], v[24:25], v[20:21]
	v_add_co_u32 v1, vcc_lo, v20, v12
	s_delay_alu instid0(VALU_DEP_2) | instskip(SKIP_1) | instid1(VALU_DEP_1)
	v_add_co_ci_u32_e32 v10, vcc_lo, v21, v13, vcc_lo
	v_add_co_ci_u32_e32 v23, vcc_lo, 0, v23, vcc_lo
	v_add_nc_u64_e32 v[10:11], v[10:11], v[22:23]
	s_delay_alu instid0(VALU_DEP_1) | instskip(NEXT) | instid1(VALU_DEP_1)
	v_mul_u64_e32 v[12:13], s[42:43], v[10:11]
	v_sub_nc_u32_e32 v1, v18, v13
	s_delay_alu instid0(VALU_DEP_2) | instskip(NEXT) | instid1(VALU_DEP_1)
	v_sub_co_u32 v3, vcc_lo, v16, v12
	v_sub_co_ci_u32_e64 v9, null, v18, v13, vcc_lo
	s_delay_alu instid0(VALU_DEP_3) | instskip(NEXT) | instid1(VALU_DEP_3)
	v_subrev_co_ci_u32_e64 v1, null, s43, v1, vcc_lo
	v_sub_co_u32 v5, s0, v3, s42
	v_add_nc_u64_e32 v[16:17], 1, v[10:11]
	s_delay_alu instid0(VALU_DEP_3) | instskip(NEXT) | instid1(VALU_DEP_3)
	v_subrev_co_ci_u32_e64 v1, null, 0, v1, s0
	v_cmp_le_u32_e32 vcc_lo, s42, v5
	v_cndmask_b32_e64 v5, 0, -1, vcc_lo
	s_delay_alu instid0(VALU_DEP_3)
	v_cmp_le_u32_e32 vcc_lo, s43, v1
	v_cndmask_b32_e64 v12, 0, -1, vcc_lo
	v_cmp_le_u32_e32 vcc_lo, s42, v3
	v_cndmask_b32_e64 v3, 0, -1, vcc_lo
	;; [unrolled: 2-line block ×3, first 2 shown]
	v_cmp_eq_u32_e32 vcc_lo, s43, v1
	v_cndmask_b32_e32 v1, v12, v5, vcc_lo
	v_cmp_eq_u32_e32 vcc_lo, s43, v9
	v_add_nc_u64_e32 v[12:13], 2, v[10:11]
	v_cndmask_b32_e32 v3, v15, v3, vcc_lo
	s_delay_alu instid0(VALU_DEP_4) | instskip(NEXT) | instid1(VALU_DEP_2)
	v_cmp_ne_u32_e32 vcc_lo, 0, v1
	v_cmp_ne_u32_e64 s0, 0, v3
	s_delay_alu instid0(VALU_DEP_4) | instskip(NEXT) | instid1(VALU_DEP_1)
	v_dual_cndmask_b32 v1, v17, v13, vcc_lo :: v_dual_cndmask_b32 v3, v16, v12, vcc_lo
                                        ; implicit-def: $vgpr12_vgpr13
	v_dual_cndmask_b32 v1, v11, v1, s0 :: v_dual_cndmask_b32 v3, v10, v3, s0
	s_delay_alu instid0(VALU_DEP_1) | instskip(NEXT) | instid1(VALU_DEP_2)
	v_dual_mov_b32 v9, v8 :: v_dual_bitop2_b32 v11, v1, v8 bitop3:0x14
	v_xor_b32_e32 v10, v3, v8
	s_delay_alu instid0(VALU_DEP_1)
	v_sub_nc_u64_e32 v[8:9], v[10:11], v[8:9]
.LBB5_41:
	s_and_not1_saveexec_b32 s0, s44
	s_cbranch_execz .LBB5_43
; %bb.42:
	v_cvt_f32_u32_e32 v1, s12
	s_sub_co_i32 s14, 0, s12
	v_mov_b32_e32 v9, 0
	s_delay_alu instid0(VALU_DEP_2) | instskip(SKIP_1) | instid1(TRANS32_DEP_1)
	v_rcp_iflag_f32_e32 v1, v1
	v_nop
	v_mul_f32_e32 v1, 0x4f7ffffe, v1
	s_delay_alu instid0(VALU_DEP_1) | instskip(NEXT) | instid1(VALU_DEP_1)
	v_cvt_u32_f32_e32 v1, v1
	v_mul_lo_u32 v3, s14, v1
	s_delay_alu instid0(VALU_DEP_1) | instskip(NEXT) | instid1(VALU_DEP_1)
	v_mul_hi_u32 v3, v1, v3
	v_add_nc_u32_e32 v1, v1, v3
	s_delay_alu instid0(VALU_DEP_1) | instskip(NEXT) | instid1(VALU_DEP_1)
	v_mul_hi_u32 v1, v12, v1
	v_mul_lo_u32 v3, v1, s12
	s_delay_alu instid0(VALU_DEP_1) | instskip(NEXT) | instid1(VALU_DEP_1)
	v_sub_nc_u32_e32 v3, v12, v3
	v_subrev_nc_u32_e32 v8, s12, v3
	v_cmp_le_u32_e32 vcc_lo, s12, v3
	s_delay_alu instid0(VALU_DEP_2) | instskip(NEXT) | instid1(VALU_DEP_1)
	v_dual_add_nc_u32 v5, 1, v1 :: v_dual_cndmask_b32 v3, v3, v8, vcc_lo
	v_cndmask_b32_e32 v1, v1, v5, vcc_lo
	s_delay_alu instid0(VALU_DEP_2) | instskip(NEXT) | instid1(VALU_DEP_2)
	v_cmp_le_u32_e32 vcc_lo, s12, v3
	v_add_nc_u32_e32 v5, 1, v1
	s_delay_alu instid0(VALU_DEP_1)
	v_cndmask_b32_e32 v8, v1, v5, vcc_lo
.LBB5_43:
	s_or_b32 exec_lo, exec_lo, s0
.LBB5_44:
	s_delay_alu instid0(SALU_CYCLE_1) | instskip(SKIP_2) | instid1(VALU_DEP_1)
	s_or_b32 exec_lo, exec_lo, s1
	v_dual_mov_b32 v10, 0 :: v_dual_bitop2_b32 v11, s13, v7 bitop3:0x54
                                        ; implicit-def: $vgpr12_vgpr13
	s_mov_b32 s0, exec_lo
	v_cmpx_ne_u64_e32 0, v[10:11]
	s_xor_b32 s1, exec_lo, s0
	s_cbranch_execz .LBB5_46
; %bb.45:
	s_ashr_i32 s14, s13, 31
	s_mov_b32 s51, 0
	s_mov_b32 s15, s14
	v_dual_mov_b32 v19, v10 :: v_dual_ashrrev_i32 v12, 31, v7
	s_add_nc_u64 s[42:43], s[12:13], s[14:15]
	v_mov_b32_e32 v21, v10
	s_xor_b64 s[42:43], s[42:43], s[14:15]
	s_delay_alu instid0(VALU_DEP_2)
	v_mov_b32_e32 v13, v12
	s_cvt_f32_u32 s0, s42
	s_cvt_f32_u32 s15, s43
	s_sub_nc_u64 s[46:47], 0, s[42:43]
	v_mov_b32_e32 v27, v10
	v_add_nc_u64_e32 v[16:17], v[6:7], v[12:13]
	s_fmamk_f32 s0, s15, 0x4f800000, s0
	v_mov_b32_e32 v11, v10
	s_delay_alu instid0(SALU_CYCLE_2) | instskip(NEXT) | instid1(VALU_DEP_2)
	v_s_rcp_f32 s0, s0
	v_xor_b32_e32 v18, v16, v12
	s_delay_alu instid0(VALU_DEP_3) | instskip(SKIP_1) | instid1(TRANS32_DEP_1)
	v_xor_b32_e32 v20, v17, v12
	v_xor_b32_e32 v12, s14, v12
	s_mul_f32 s0, s0, 0x5f7ffffc
	s_delay_alu instid0(SALU_CYCLE_3) | instskip(NEXT) | instid1(SALU_CYCLE_3)
	s_mul_f32 s15, s0, 0x2f800000
	s_trunc_f32 s15, s15
	s_delay_alu instid0(SALU_CYCLE_3) | instskip(SKIP_1) | instid1(SALU_CYCLE_2)
	s_fmamk_f32 s0, s15, 0xcf800000, s0
	s_cvt_u32_f32 s45, s15
	s_cvt_u32_f32 s44, s0
	s_delay_alu instid0(SALU_CYCLE_3) | instskip(NEXT) | instid1(SALU_CYCLE_1)
	s_mul_u64 s[48:49], s[46:47], s[44:45]
	s_mul_hi_u32 s53, s44, s49
	s_mul_i32 s52, s44, s49
	s_mul_hi_u32 s50, s44, s48
	s_mul_i32 s15, s45, s48
	s_add_nc_u64 s[52:53], s[50:51], s[52:53]
	s_mul_hi_u32 s0, s45, s48
	s_mul_hi_u32 s54, s45, s49
	s_add_co_u32 s15, s52, s15
	s_add_co_ci_u32 s50, s53, s0
	s_mul_i32 s48, s45, s49
	s_add_co_ci_u32 s49, s54, 0
	s_delay_alu instid0(SALU_CYCLE_1) | instskip(NEXT) | instid1(SALU_CYCLE_1)
	s_add_nc_u64 s[48:49], s[50:51], s[48:49]
	s_add_co_u32 s44, s44, s48
	s_cselect_b32 s0, -1, 0
	s_delay_alu instid0(SALU_CYCLE_1) | instskip(SKIP_1) | instid1(SALU_CYCLE_1)
	s_cmp_lg_u32 s0, 0
	s_add_co_ci_u32 s45, s45, s49
	s_mul_u64 s[46:47], s[46:47], s[44:45]
	s_delay_alu instid0(SALU_CYCLE_1)
	s_mul_hi_u32 s49, s44, s47
	s_mul_i32 s48, s44, s47
	s_mul_hi_u32 s50, s44, s46
	s_mul_i32 s15, s45, s46
	s_add_nc_u64 s[48:49], s[50:51], s[48:49]
	s_mul_hi_u32 s0, s45, s46
	s_mul_hi_u32 s52, s45, s47
	s_add_co_u32 s15, s48, s15
	s_add_co_ci_u32 s50, s49, s0
	s_mul_i32 s46, s45, s47
	s_add_co_ci_u32 s47, s52, 0
	s_delay_alu instid0(SALU_CYCLE_1) | instskip(NEXT) | instid1(SALU_CYCLE_1)
	s_add_nc_u64 s[46:47], s[50:51], s[46:47]
	s_add_co_u32 s0, s44, s46
	s_cselect_b32 s15, -1, 0
	v_mul_hi_u32 v26, v18, s0
	s_cmp_lg_u32 s15, 0
	s_add_co_ci_u32 s50, s45, s47
	s_mov_b64 s[44:45], 0xffffffff
	v_mul_u64_e32 v[22:23], s[50:51], v[18:19]
	s_and_b64 s[44:45], s[0:1], s[44:45]
	v_mul_u64_e32 v[24:25], s[50:51], v[20:21]
	v_mul_u64_e32 v[16:17], s[44:45], v[20:21]
	s_delay_alu instid0(VALU_DEP_3) | instskip(NEXT) | instid1(VALU_DEP_1)
	v_add_nc_u64_e32 v[22:23], v[26:27], v[22:23]
	v_add_co_u32 v1, vcc_lo, v22, v16
	s_delay_alu instid0(VALU_DEP_2) | instskip(SKIP_1) | instid1(VALU_DEP_1)
	v_add_co_ci_u32_e32 v10, vcc_lo, v23, v17, vcc_lo
	v_add_co_ci_u32_e32 v25, vcc_lo, 0, v25, vcc_lo
	v_add_nc_u64_e32 v[10:11], v[10:11], v[24:25]
	s_delay_alu instid0(VALU_DEP_1) | instskip(NEXT) | instid1(VALU_DEP_1)
	v_mul_u64_e32 v[16:17], s[42:43], v[10:11]
	v_sub_nc_u32_e32 v1, v20, v17
	s_delay_alu instid0(VALU_DEP_2) | instskip(NEXT) | instid1(VALU_DEP_1)
	v_sub_co_u32 v3, vcc_lo, v18, v16
	v_sub_co_ci_u32_e64 v13, null, v20, v17, vcc_lo
	s_delay_alu instid0(VALU_DEP_3) | instskip(NEXT) | instid1(VALU_DEP_3)
	v_subrev_co_ci_u32_e64 v1, null, s43, v1, vcc_lo
	v_sub_co_u32 v5, s0, v3, s42
	v_add_nc_u64_e32 v[16:17], 2, v[10:11]
	s_delay_alu instid0(VALU_DEP_3) | instskip(NEXT) | instid1(VALU_DEP_3)
	v_subrev_co_ci_u32_e64 v1, null, 0, v1, s0
	v_cmp_le_u32_e32 vcc_lo, s42, v5
	v_add_nc_u64_e32 v[18:19], 1, v[10:11]
	v_cndmask_b32_e64 v5, 0, -1, vcc_lo
	s_delay_alu instid0(VALU_DEP_4)
	v_cmp_le_u32_e32 vcc_lo, s43, v1
	v_cndmask_b32_e64 v15, 0, -1, vcc_lo
	v_cmp_le_u32_e32 vcc_lo, s42, v3
	v_cndmask_b32_e64 v3, 0, -1, vcc_lo
	;; [unrolled: 2-line block ×3, first 2 shown]
	v_cmp_eq_u32_e32 vcc_lo, s43, v1
	v_cndmask_b32_e32 v1, v15, v5, vcc_lo
	v_cmp_eq_u32_e32 vcc_lo, s43, v13
	s_delay_alu instid0(VALU_DEP_4) | instskip(NEXT) | instid1(VALU_DEP_3)
	v_cndmask_b32_e32 v3, v20, v3, vcc_lo
	v_cmp_ne_u32_e32 vcc_lo, 0, v1
	s_delay_alu instid0(VALU_DEP_2) | instskip(SKIP_1) | instid1(VALU_DEP_1)
	v_cmp_ne_u32_e64 s0, 0, v3
	v_dual_cndmask_b32 v1, v19, v17, vcc_lo :: v_dual_cndmask_b32 v3, v18, v16, vcc_lo
	v_dual_cndmask_b32 v1, v11, v1, s0 :: v_dual_cndmask_b32 v3, v10, v3, s0
	s_delay_alu instid0(VALU_DEP_1) | instskip(NEXT) | instid1(VALU_DEP_2)
	v_dual_mov_b32 v13, v12 :: v_dual_bitop2_b32 v11, v1, v12 bitop3:0x14
	v_xor_b32_e32 v10, v3, v12
	s_delay_alu instid0(VALU_DEP_1)
	v_sub_nc_u64_e32 v[12:13], v[10:11], v[12:13]
.LBB5_46:
	s_and_not1_saveexec_b32 s0, s1
	s_cbranch_execz .LBB5_48
; %bb.47:
	v_cvt_f32_u32_e32 v1, s12
	s_sub_co_i32 s1, 0, s12
	v_mov_b32_e32 v13, 0
	s_delay_alu instid0(VALU_DEP_2) | instskip(SKIP_1) | instid1(TRANS32_DEP_1)
	v_rcp_iflag_f32_e32 v1, v1
	v_nop
	v_mul_f32_e32 v1, 0x4f7ffffe, v1
	s_delay_alu instid0(VALU_DEP_1) | instskip(NEXT) | instid1(VALU_DEP_1)
	v_cvt_u32_f32_e32 v1, v1
	v_mul_lo_u32 v3, s1, v1
	s_delay_alu instid0(VALU_DEP_1) | instskip(NEXT) | instid1(VALU_DEP_1)
	v_mul_hi_u32 v3, v1, v3
	v_add_nc_u32_e32 v1, v1, v3
	s_delay_alu instid0(VALU_DEP_1) | instskip(NEXT) | instid1(VALU_DEP_1)
	v_mul_hi_u32 v1, v6, v1
	v_mul_lo_u32 v3, v1, s12
	s_delay_alu instid0(VALU_DEP_1) | instskip(NEXT) | instid1(VALU_DEP_1)
	v_sub_nc_u32_e32 v3, v6, v3
	v_subrev_nc_u32_e32 v10, s12, v3
	v_cmp_le_u32_e32 vcc_lo, s12, v3
	s_delay_alu instid0(VALU_DEP_2) | instskip(NEXT) | instid1(VALU_DEP_1)
	v_dual_add_nc_u32 v5, 1, v1 :: v_dual_cndmask_b32 v3, v3, v10, vcc_lo
	v_cndmask_b32_e32 v1, v1, v5, vcc_lo
	s_delay_alu instid0(VALU_DEP_2) | instskip(NEXT) | instid1(VALU_DEP_2)
	v_cmp_le_u32_e32 vcc_lo, s12, v3
	v_add_nc_u32_e32 v5, 1, v1
	s_delay_alu instid0(VALU_DEP_1)
	v_cndmask_b32_e32 v12, v1, v5, vcc_lo
.LBB5_48:
	s_or_b32 exec_lo, exec_lo, s0
	v_mul_u64_e32 v[16:17], s[12:13], v[8:9]
	s_delay_alu instid0(VALU_DEP_2) | instskip(SKIP_2) | instid1(VALU_DEP_2)
	v_min_i64 v[10:11], v[12:13], s[2:3]
	s_mov_b32 s14, 0
	s_mov_b32 s15, exec_lo
	v_add_nc_u64_e32 v[12:13], s[10:11], v[16:17]
	v_cmp_gt_i64_e32 vcc_lo, v[16:17], v[6:7]
	s_delay_alu instid0(VALU_DEP_2) | instskip(SKIP_2) | instid1(SALU_CYCLE_1)
	v_cmp_ge_i64_e64 s0, v[6:7], v[12:13]
	v_mov_b32_e32 v13, s14
	s_or_b32 s0, vcc_lo, s0
	v_cndmask_b32_e64 v12, 0, 1, s0
	s_delay_alu instid0(VALU_DEP_1) | instskip(NEXT) | instid1(VALU_DEP_1)
	v_add_nc_u64_e32 v[12:13], v[8:9], v[12:13]
	v_cmpx_le_i64_e64 v[12:13], v[10:11]
	s_cbranch_execz .LBB5_51
; %bb.49:
	global_load_b64 v[8:9], v2, s[4:5]
	v_mul_u64_e32 v[16:17], s[12:13], v[12:13]
	v_mov_b32_e32 v3, 0
	s_mul_u64 s[0:1], s[12:13], s[18:19]
	s_lshl_b64 s[42:43], s[16:17], 3
	s_lshl_b64 s[0:1], s[0:1], 3
	s_delay_alu instid0(VALU_DEP_1) | instskip(SKIP_3) | instid1(VALU_DEP_4)
	v_mov_b32_e32 v5, v3
	s_wait_xcnt 0x0
	v_add_nc_u64_e32 v[2:3], s[4:5], v[2:3]
	s_sub_nc_u64 s[0:1], s[42:43], s[0:1]
	v_sub_nc_u64_e32 v[6:7], v[6:7], v[16:17]
	v_mul_u64_e32 v[16:17], s[16:17], v[12:13]
	s_delay_alu instid0(VALU_DEP_2) | instskip(NEXT) | instid1(VALU_DEP_2)
	v_mul_u64_e32 v[6:7], s[18:19], v[6:7]
	v_lshlrev_b64_e32 v[16:17], 3, v[16:17]
	s_delay_alu instid0(VALU_DEP_1) | instskip(NEXT) | instid1(VALU_DEP_1)
	v_lshl_add_u64 v[6:7], v[6:7], 3, v[16:17]
	v_add_nc_u64_e32 v[6:7], v[6:7], v[4:5]
	v_add_nc_u64_e32 v[4:5], -1, v[12:13]
	s_delay_alu instid0(VALU_DEP_2)
	v_add_nc_u64_e32 v[6:7], s[6:7], v[6:7]
.LBB5_50:                               ; =>This Inner Loop Header: Depth=1
	global_load_b64 v[12:13], v[6:7], off
	v_add_nc_u64_e32 v[4:5], 1, v[4:5]
	s_wait_xcnt 0x0
	v_add_nc_u64_e32 v[6:7], s[0:1], v[6:7]
	s_delay_alu instid0(VALU_DEP_2)
	v_cmp_ge_i64_e32 vcc_lo, v[4:5], v[10:11]
	s_or_b32 s14, vcc_lo, s14
	s_wait_loadcnt 0x0
	v_add_f64_e32 v[8:9], v[8:9], v[12:13]
	global_store_b64 v[2:3], v[8:9], off
	s_wait_xcnt 0x0
	s_and_not1_b32 exec_lo, exec_lo, s14
	s_cbranch_execnz .LBB5_50
.LBB5_51:
	s_or_b32 exec_lo, exec_lo, s15
	v_add_nc_u32_e32 v0, 0x100, v0
	s_or_b32 exec_lo, exec_lo, s29
	s_delay_alu instid0(SALU_CYCLE_1) | instskip(NEXT) | instid1(VALU_DEP_1)
	s_mov_b32 s29, exec_lo
	v_cmpx_gt_i32_e64 s31, v0
	s_cbranch_execz .LBB5_3
.LBB5_52:
	v_cmp_ne_u32_e32 vcc_lo, 1, v14
	s_cbranch_vccnz .LBB5_59
; %bb.53:
	v_dual_mov_b32 v3, 0 :: v_dual_mov_b32 v4, 0
	v_mov_b32_e32 v2, 0
	s_and_not1_b32 vcc_lo, exec_lo, s33
	s_cbranch_vccnz .LBB5_58
; %bb.54:
	v_dual_mov_b32 v2, 0 :: v_dual_mov_b32 v1, v0
	v_dual_mov_b32 v4, 0 :: v_dual_mov_b32 v3, 0
	s_add_co_i32 s14, s22, 1
	s_mov_b64 s[0:1], 0xffffffffffffffe8
	s_and_b32 s14, s14, 30
	s_add_nc_u64 s[0:1], s[40:41], s[0:1]
.LBB5_55:                               ; =>This Inner Loop Header: Depth=1
	s_clause 0x1
	s_load_b128 s[44:47], s[0:1], 0x1c
	s_load_b64 s[42:43], s[0:1], 0x2c
	s_add_co_i32 s14, s14, -2
	s_delay_alu instid0(SALU_CYCLE_1) | instskip(SKIP_2) | instid1(VALU_DEP_1)
	s_cmp_eq_u32 s14, 0
	s_wait_kmcnt 0x0
	v_mul_hi_u32 v5, s45, v1
	v_add_nc_u32_e32 v5, v1, v5
	s_delay_alu instid0(VALU_DEP_1) | instskip(NEXT) | instid1(VALU_DEP_1)
	v_lshrrev_b32_e32 v5, s46, v5
	v_mul_hi_u32 v6, s42, v5
	v_mul_lo_u32 v7, v5, s44
	s_clause 0x1
	s_load_b128 s[48:51], s[0:1], 0xdc
	s_load_b64 s[44:45], s[0:1], 0xec
	s_wait_xcnt 0x0
	s_add_nc_u64 s[0:1], s[0:1], 24
	s_delay_alu instid0(VALU_DEP_2) | instskip(NEXT) | instid1(VALU_DEP_1)
	v_add_nc_u32_e32 v6, v5, v6
	v_dual_sub_nc_u32 v7, v1, v7 :: v_dual_lshrrev_b32 v1, s43, v6
	s_wait_kmcnt 0x0
	s_delay_alu instid0(VALU_DEP_1) | instskip(NEXT) | instid1(VALU_DEP_2)
	v_mad_u32 v2, v7, s48, v2
	v_mul_lo_u32 v6, v1, s47
	v_mad_u32 v3, v7, s50, v3
	v_mad_u32 v4, v7, s49, v4
	s_delay_alu instid0(VALU_DEP_3) | instskip(NEXT) | instid1(VALU_DEP_1)
	v_sub_nc_u32_e32 v5, v5, v6
	v_mad_u32 v2, v5, s51, v2
	s_delay_alu instid0(VALU_DEP_4) | instskip(NEXT) | instid1(VALU_DEP_4)
	v_mad_u32 v3, v5, s45, v3
	v_mad_u32 v4, v5, s44, v4
	s_cbranch_scc0 .LBB5_55
; %bb.56:
	s_bitcmp1_b32 s22, 0
	s_cselect_b32 s14, -1, 0
	s_delay_alu instid0(SALU_CYCLE_1)
	s_and_b32 vcc_lo, exec_lo, s14
	s_cbranch_vccnz .LBB5_58
; %bb.57:
	s_clause 0x1
	s_load_b96 s[44:46], s[0:1], 0x1c
	s_load_b96 s[48:50], s[0:1], 0xdc
	s_wait_kmcnt 0x0
	v_mul_hi_u32 v5, s45, v1
	s_delay_alu instid0(VALU_DEP_1) | instskip(NEXT) | instid1(VALU_DEP_1)
	v_add_nc_u32_e32 v5, v1, v5
	v_lshrrev_b32_e32 v5, s46, v5
	s_delay_alu instid0(VALU_DEP_1) | instskip(NEXT) | instid1(VALU_DEP_1)
	v_mul_lo_u32 v5, v5, s44
	v_sub_nc_u32_e32 v1, v1, v5
	s_delay_alu instid0(VALU_DEP_1)
	v_mad_u32 v2, v1, s48, v2
	v_mad_u32 v4, v1, s49, v4
	;; [unrolled: 1-line block ×3, first 2 shown]
.LBB5_58:
	s_cbranch_execz .LBB5_60
	s_branch .LBB5_62
.LBB5_59:
                                        ; implicit-def: $vgpr3
                                        ; implicit-def: $vgpr4
                                        ; implicit-def: $vgpr2
.LBB5_60:
	v_mov_b32_e32 v1, 0
	s_and_not1_b32 vcc_lo, exec_lo, s20
	s_delay_alu instid0(VALU_DEP_1) | instskip(NEXT) | instid1(VALU_DEP_1)
	v_mul_u64_e32 v[2:3], s[36:37], v[0:1]
	v_add_nc_u32_e32 v2, v0, v3
	s_delay_alu instid0(VALU_DEP_1) | instskip(NEXT) | instid1(VALU_DEP_1)
	v_lshrrev_b32_e32 v6, s23, v2
	v_mul_lo_u32 v2, v6, s21
	s_delay_alu instid0(VALU_DEP_1) | instskip(NEXT) | instid1(VALU_DEP_1)
	v_sub_nc_u32_e32 v4, v0, v2
	v_mul_lo_u32 v2, v4, s24
	v_mul_lo_u32 v3, v4, s26
	v_mul_lo_u32 v4, v4, s25
	s_cbranch_vccnz .LBB5_62
; %bb.61:
	v_mov_b32_e32 v7, v1
	s_delay_alu instid0(VALU_DEP_1) | instskip(NEXT) | instid1(VALU_DEP_1)
	v_mul_u64_e32 v[8:9], s[38:39], v[6:7]
	v_add_nc_u32_e32 v1, v6, v9
	s_delay_alu instid0(VALU_DEP_1) | instskip(NEXT) | instid1(VALU_DEP_1)
	v_lshrrev_b32_e32 v1, s30, v1
	v_mul_lo_u32 v1, v1, s28
	s_delay_alu instid0(VALU_DEP_1) | instskip(NEXT) | instid1(VALU_DEP_1)
	v_sub_nc_u32_e32 v1, v6, v1
	v_mad_u32 v2, v1, s27, v2
	v_mad_u32 v4, v1, s34, v4
	;; [unrolled: 1-line block ×3, first 2 shown]
.LBB5_62:
	global_load_b64 v[6:7], v3, s[8:9]
	v_mov_b64_e32 v[8:9], 0
	s_mov_b32 s1, exec_lo
	s_wait_loadcnt 0x0
	v_cmpx_lt_i64_e64 s[10:11], v[6:7]
	s_cbranch_execz .LBB5_68
; %bb.63:
	v_sub_nc_u64_e64 v[12:13], v[6:7], s[10:11]
                                        ; implicit-def: $vgpr8_vgpr9
	s_mov_b32 s0, exec_lo
	s_delay_alu instid0(VALU_DEP_1) | instskip(NEXT) | instid1(VALU_DEP_1)
	v_dual_mov_b32 v10, 0 :: v_dual_bitop2_b32 v11, s13, v13 bitop3:0x54
	v_cmpx_ne_u64_e32 0, v[10:11]
	s_xor_b32 s44, exec_lo, s0
	s_cbranch_execz .LBB5_65
; %bb.64:
	s_ashr_i32 s14, s13, 31
	s_mov_b32 s53, 0
	s_mov_b32 s15, s14
	v_dual_mov_b32 v17, v10 :: v_dual_ashrrev_i32 v8, 31, v13
	s_add_nc_u64 s[42:43], s[12:13], s[14:15]
	v_mov_b32_e32 v19, v10
	s_xor_b64 s[42:43], s[42:43], s[14:15]
	s_delay_alu instid0(VALU_DEP_2)
	v_mov_b32_e32 v9, v8
	s_cvt_f32_u32 s0, s42
	s_cvt_f32_u32 s15, s43
	s_sub_nc_u64 s[48:49], 0, s[42:43]
	v_mov_b32_e32 v25, v10
	v_add_nc_u64_e32 v[12:13], v[12:13], v[8:9]
	s_fmamk_f32 s0, s15, 0x4f800000, s0
	v_mov_b32_e32 v11, v10
	s_delay_alu instid0(SALU_CYCLE_2) | instskip(NEXT) | instid1(VALU_DEP_2)
	v_s_rcp_f32 s0, s0
	v_xor_b32_e32 v16, v12, v8
	s_delay_alu instid0(VALU_DEP_3) | instskip(SKIP_1) | instid1(TRANS32_DEP_1)
	v_xor_b32_e32 v18, v13, v8
	v_xor_b32_e32 v8, s14, v8
	s_mul_f32 s0, s0, 0x5f7ffffc
	s_delay_alu instid0(SALU_CYCLE_3) | instskip(NEXT) | instid1(SALU_CYCLE_3)
	s_mul_f32 s15, s0, 0x2f800000
	s_trunc_f32 s15, s15
	s_delay_alu instid0(SALU_CYCLE_3) | instskip(SKIP_1) | instid1(SALU_CYCLE_2)
	s_fmamk_f32 s0, s15, 0xcf800000, s0
	s_cvt_u32_f32 s47, s15
	s_cvt_u32_f32 s46, s0
	s_delay_alu instid0(SALU_CYCLE_3) | instskip(NEXT) | instid1(SALU_CYCLE_1)
	s_mul_u64 s[50:51], s[48:49], s[46:47]
	s_mul_hi_u32 s55, s46, s51
	s_mul_i32 s54, s46, s51
	s_mul_hi_u32 s52, s46, s50
	s_mul_i32 s15, s47, s50
	s_add_nc_u64 s[54:55], s[52:53], s[54:55]
	s_mul_hi_u32 s0, s47, s50
	s_mul_hi_u32 s45, s47, s51
	s_add_co_u32 s15, s54, s15
	s_add_co_ci_u32 s52, s55, s0
	s_mul_i32 s50, s47, s51
	s_add_co_ci_u32 s51, s45, 0
	s_delay_alu instid0(SALU_CYCLE_1) | instskip(NEXT) | instid1(SALU_CYCLE_1)
	s_add_nc_u64 s[50:51], s[52:53], s[50:51]
	s_add_co_u32 s46, s46, s50
	s_cselect_b32 s0, -1, 0
	s_delay_alu instid0(SALU_CYCLE_1) | instskip(SKIP_1) | instid1(SALU_CYCLE_1)
	s_cmp_lg_u32 s0, 0
	s_add_co_ci_u32 s47, s47, s51
	s_mul_u64 s[48:49], s[48:49], s[46:47]
	s_delay_alu instid0(SALU_CYCLE_1)
	s_mul_hi_u32 s51, s46, s49
	s_mul_i32 s50, s46, s49
	s_mul_hi_u32 s52, s46, s48
	s_mul_i32 s15, s47, s48
	s_add_nc_u64 s[50:51], s[52:53], s[50:51]
	s_mul_hi_u32 s0, s47, s48
	s_mul_hi_u32 s45, s47, s49
	s_add_co_u32 s15, s50, s15
	s_add_co_ci_u32 s52, s51, s0
	s_mul_i32 s48, s47, s49
	s_add_co_ci_u32 s49, s45, 0
	s_delay_alu instid0(SALU_CYCLE_1) | instskip(NEXT) | instid1(SALU_CYCLE_1)
	s_add_nc_u64 s[48:49], s[52:53], s[48:49]
	s_add_co_u32 s0, s46, s48
	s_cselect_b32 s15, -1, 0
	v_mul_hi_u32 v24, v16, s0
	s_cmp_lg_u32 s15, 0
	s_add_co_ci_u32 s52, s47, s49
	s_mov_b64 s[46:47], 0xffffffff
	v_mul_u64_e32 v[20:21], s[52:53], v[16:17]
	s_and_b64 s[46:47], s[0:1], s[46:47]
	v_mul_u64_e32 v[22:23], s[52:53], v[18:19]
	v_mul_u64_e32 v[12:13], s[46:47], v[18:19]
	s_delay_alu instid0(VALU_DEP_3) | instskip(NEXT) | instid1(VALU_DEP_1)
	v_add_nc_u64_e32 v[20:21], v[24:25], v[20:21]
	v_add_co_u32 v1, vcc_lo, v20, v12
	s_delay_alu instid0(VALU_DEP_2) | instskip(SKIP_1) | instid1(VALU_DEP_1)
	v_add_co_ci_u32_e32 v10, vcc_lo, v21, v13, vcc_lo
	v_add_co_ci_u32_e32 v23, vcc_lo, 0, v23, vcc_lo
	v_add_nc_u64_e32 v[10:11], v[10:11], v[22:23]
	s_delay_alu instid0(VALU_DEP_1) | instskip(NEXT) | instid1(VALU_DEP_1)
	v_mul_u64_e32 v[12:13], s[42:43], v[10:11]
	v_sub_nc_u32_e32 v1, v18, v13
	s_delay_alu instid0(VALU_DEP_2) | instskip(NEXT) | instid1(VALU_DEP_1)
	v_sub_co_u32 v3, vcc_lo, v16, v12
	v_sub_co_ci_u32_e64 v9, null, v18, v13, vcc_lo
	s_delay_alu instid0(VALU_DEP_3) | instskip(NEXT) | instid1(VALU_DEP_3)
	v_subrev_co_ci_u32_e64 v1, null, s43, v1, vcc_lo
	v_sub_co_u32 v5, s0, v3, s42
	v_add_nc_u64_e32 v[16:17], 1, v[10:11]
	s_delay_alu instid0(VALU_DEP_3) | instskip(NEXT) | instid1(VALU_DEP_3)
	v_subrev_co_ci_u32_e64 v1, null, 0, v1, s0
	v_cmp_le_u32_e32 vcc_lo, s42, v5
	v_cndmask_b32_e64 v5, 0, -1, vcc_lo
	s_delay_alu instid0(VALU_DEP_3)
	v_cmp_le_u32_e32 vcc_lo, s43, v1
	v_cndmask_b32_e64 v12, 0, -1, vcc_lo
	v_cmp_le_u32_e32 vcc_lo, s42, v3
	v_cndmask_b32_e64 v3, 0, -1, vcc_lo
	;; [unrolled: 2-line block ×3, first 2 shown]
	v_cmp_eq_u32_e32 vcc_lo, s43, v1
	v_cndmask_b32_e32 v1, v12, v5, vcc_lo
	v_cmp_eq_u32_e32 vcc_lo, s43, v9
	v_add_nc_u64_e32 v[12:13], 2, v[10:11]
	v_cndmask_b32_e32 v3, v15, v3, vcc_lo
	s_delay_alu instid0(VALU_DEP_4) | instskip(NEXT) | instid1(VALU_DEP_2)
	v_cmp_ne_u32_e32 vcc_lo, 0, v1
	v_cmp_ne_u32_e64 s0, 0, v3
	s_delay_alu instid0(VALU_DEP_4) | instskip(NEXT) | instid1(VALU_DEP_1)
	v_dual_cndmask_b32 v1, v17, v13, vcc_lo :: v_dual_cndmask_b32 v3, v16, v12, vcc_lo
                                        ; implicit-def: $vgpr12_vgpr13
	v_dual_cndmask_b32 v1, v11, v1, s0 :: v_dual_cndmask_b32 v3, v10, v3, s0
	s_delay_alu instid0(VALU_DEP_1) | instskip(NEXT) | instid1(VALU_DEP_2)
	v_dual_mov_b32 v9, v8 :: v_dual_bitop2_b32 v11, v1, v8 bitop3:0x14
	v_xor_b32_e32 v10, v3, v8
	s_delay_alu instid0(VALU_DEP_1)
	v_sub_nc_u64_e32 v[8:9], v[10:11], v[8:9]
.LBB5_65:
	s_and_not1_saveexec_b32 s0, s44
	s_cbranch_execz .LBB5_67
; %bb.66:
	v_cvt_f32_u32_e32 v1, s12
	s_sub_co_i32 s14, 0, s12
	v_mov_b32_e32 v9, 0
	s_delay_alu instid0(VALU_DEP_2) | instskip(SKIP_1) | instid1(TRANS32_DEP_1)
	v_rcp_iflag_f32_e32 v1, v1
	v_nop
	v_mul_f32_e32 v1, 0x4f7ffffe, v1
	s_delay_alu instid0(VALU_DEP_1) | instskip(NEXT) | instid1(VALU_DEP_1)
	v_cvt_u32_f32_e32 v1, v1
	v_mul_lo_u32 v3, s14, v1
	s_delay_alu instid0(VALU_DEP_1) | instskip(NEXT) | instid1(VALU_DEP_1)
	v_mul_hi_u32 v3, v1, v3
	v_add_nc_u32_e32 v1, v1, v3
	s_delay_alu instid0(VALU_DEP_1) | instskip(NEXT) | instid1(VALU_DEP_1)
	v_mul_hi_u32 v1, v12, v1
	v_mul_lo_u32 v3, v1, s12
	s_delay_alu instid0(VALU_DEP_1) | instskip(NEXT) | instid1(VALU_DEP_1)
	v_sub_nc_u32_e32 v3, v12, v3
	v_subrev_nc_u32_e32 v8, s12, v3
	v_cmp_le_u32_e32 vcc_lo, s12, v3
	s_delay_alu instid0(VALU_DEP_2) | instskip(NEXT) | instid1(VALU_DEP_1)
	v_dual_add_nc_u32 v5, 1, v1 :: v_dual_cndmask_b32 v3, v3, v8, vcc_lo
	v_cndmask_b32_e32 v1, v1, v5, vcc_lo
	s_delay_alu instid0(VALU_DEP_2) | instskip(NEXT) | instid1(VALU_DEP_2)
	v_cmp_le_u32_e32 vcc_lo, s12, v3
	v_add_nc_u32_e32 v5, 1, v1
	s_delay_alu instid0(VALU_DEP_1)
	v_cndmask_b32_e32 v8, v1, v5, vcc_lo
.LBB5_67:
	s_or_b32 exec_lo, exec_lo, s0
.LBB5_68:
	s_delay_alu instid0(SALU_CYCLE_1) | instskip(SKIP_2) | instid1(VALU_DEP_1)
	s_or_b32 exec_lo, exec_lo, s1
	v_dual_mov_b32 v10, 0 :: v_dual_bitop2_b32 v11, s13, v7 bitop3:0x54
                                        ; implicit-def: $vgpr12_vgpr13
	s_mov_b32 s0, exec_lo
	v_cmpx_ne_u64_e32 0, v[10:11]
	s_xor_b32 s1, exec_lo, s0
	s_cbranch_execz .LBB5_70
; %bb.69:
	s_ashr_i32 s14, s13, 31
	s_mov_b32 s51, 0
	s_mov_b32 s15, s14
	v_dual_mov_b32 v19, v10 :: v_dual_ashrrev_i32 v12, 31, v7
	s_add_nc_u64 s[42:43], s[12:13], s[14:15]
	v_mov_b32_e32 v21, v10
	s_xor_b64 s[42:43], s[42:43], s[14:15]
	s_delay_alu instid0(VALU_DEP_2)
	v_mov_b32_e32 v13, v12
	s_cvt_f32_u32 s0, s42
	s_cvt_f32_u32 s15, s43
	s_sub_nc_u64 s[46:47], 0, s[42:43]
	v_mov_b32_e32 v27, v10
	v_add_nc_u64_e32 v[16:17], v[6:7], v[12:13]
	s_fmamk_f32 s0, s15, 0x4f800000, s0
	v_mov_b32_e32 v11, v10
	s_delay_alu instid0(SALU_CYCLE_2) | instskip(NEXT) | instid1(VALU_DEP_2)
	v_s_rcp_f32 s0, s0
	v_xor_b32_e32 v18, v16, v12
	s_delay_alu instid0(VALU_DEP_3) | instskip(SKIP_1) | instid1(TRANS32_DEP_1)
	v_xor_b32_e32 v20, v17, v12
	v_xor_b32_e32 v12, s14, v12
	s_mul_f32 s0, s0, 0x5f7ffffc
	s_delay_alu instid0(SALU_CYCLE_3) | instskip(NEXT) | instid1(SALU_CYCLE_3)
	s_mul_f32 s15, s0, 0x2f800000
	s_trunc_f32 s15, s15
	s_delay_alu instid0(SALU_CYCLE_3) | instskip(SKIP_1) | instid1(SALU_CYCLE_2)
	s_fmamk_f32 s0, s15, 0xcf800000, s0
	s_cvt_u32_f32 s45, s15
	s_cvt_u32_f32 s44, s0
	s_delay_alu instid0(SALU_CYCLE_3) | instskip(NEXT) | instid1(SALU_CYCLE_1)
	s_mul_u64 s[48:49], s[46:47], s[44:45]
	s_mul_hi_u32 s53, s44, s49
	s_mul_i32 s52, s44, s49
	s_mul_hi_u32 s50, s44, s48
	s_mul_i32 s15, s45, s48
	s_add_nc_u64 s[52:53], s[50:51], s[52:53]
	s_mul_hi_u32 s0, s45, s48
	s_mul_hi_u32 s54, s45, s49
	s_add_co_u32 s15, s52, s15
	s_add_co_ci_u32 s50, s53, s0
	s_mul_i32 s48, s45, s49
	s_add_co_ci_u32 s49, s54, 0
	s_delay_alu instid0(SALU_CYCLE_1) | instskip(NEXT) | instid1(SALU_CYCLE_1)
	s_add_nc_u64 s[48:49], s[50:51], s[48:49]
	s_add_co_u32 s44, s44, s48
	s_cselect_b32 s0, -1, 0
	s_delay_alu instid0(SALU_CYCLE_1) | instskip(SKIP_1) | instid1(SALU_CYCLE_1)
	s_cmp_lg_u32 s0, 0
	s_add_co_ci_u32 s45, s45, s49
	s_mul_u64 s[46:47], s[46:47], s[44:45]
	s_delay_alu instid0(SALU_CYCLE_1)
	s_mul_hi_u32 s49, s44, s47
	s_mul_i32 s48, s44, s47
	s_mul_hi_u32 s50, s44, s46
	s_mul_i32 s15, s45, s46
	s_add_nc_u64 s[48:49], s[50:51], s[48:49]
	s_mul_hi_u32 s0, s45, s46
	s_mul_hi_u32 s52, s45, s47
	s_add_co_u32 s15, s48, s15
	s_add_co_ci_u32 s50, s49, s0
	s_mul_i32 s46, s45, s47
	s_add_co_ci_u32 s47, s52, 0
	s_delay_alu instid0(SALU_CYCLE_1) | instskip(NEXT) | instid1(SALU_CYCLE_1)
	s_add_nc_u64 s[46:47], s[50:51], s[46:47]
	s_add_co_u32 s0, s44, s46
	s_cselect_b32 s15, -1, 0
	v_mul_hi_u32 v26, v18, s0
	s_cmp_lg_u32 s15, 0
	s_add_co_ci_u32 s50, s45, s47
	s_mov_b64 s[44:45], 0xffffffff
	v_mul_u64_e32 v[22:23], s[50:51], v[18:19]
	s_and_b64 s[44:45], s[0:1], s[44:45]
	v_mul_u64_e32 v[24:25], s[50:51], v[20:21]
	v_mul_u64_e32 v[16:17], s[44:45], v[20:21]
	s_delay_alu instid0(VALU_DEP_3) | instskip(NEXT) | instid1(VALU_DEP_1)
	v_add_nc_u64_e32 v[22:23], v[26:27], v[22:23]
	v_add_co_u32 v1, vcc_lo, v22, v16
	s_delay_alu instid0(VALU_DEP_2) | instskip(SKIP_1) | instid1(VALU_DEP_1)
	v_add_co_ci_u32_e32 v10, vcc_lo, v23, v17, vcc_lo
	v_add_co_ci_u32_e32 v25, vcc_lo, 0, v25, vcc_lo
	v_add_nc_u64_e32 v[10:11], v[10:11], v[24:25]
	s_delay_alu instid0(VALU_DEP_1) | instskip(NEXT) | instid1(VALU_DEP_1)
	v_mul_u64_e32 v[16:17], s[42:43], v[10:11]
	v_sub_nc_u32_e32 v1, v20, v17
	s_delay_alu instid0(VALU_DEP_2) | instskip(NEXT) | instid1(VALU_DEP_1)
	v_sub_co_u32 v3, vcc_lo, v18, v16
	v_sub_co_ci_u32_e64 v13, null, v20, v17, vcc_lo
	s_delay_alu instid0(VALU_DEP_3) | instskip(NEXT) | instid1(VALU_DEP_3)
	v_subrev_co_ci_u32_e64 v1, null, s43, v1, vcc_lo
	v_sub_co_u32 v5, s0, v3, s42
	v_add_nc_u64_e32 v[16:17], 2, v[10:11]
	s_delay_alu instid0(VALU_DEP_3) | instskip(NEXT) | instid1(VALU_DEP_3)
	v_subrev_co_ci_u32_e64 v1, null, 0, v1, s0
	v_cmp_le_u32_e32 vcc_lo, s42, v5
	v_add_nc_u64_e32 v[18:19], 1, v[10:11]
	v_cndmask_b32_e64 v5, 0, -1, vcc_lo
	s_delay_alu instid0(VALU_DEP_4)
	v_cmp_le_u32_e32 vcc_lo, s43, v1
	v_cndmask_b32_e64 v15, 0, -1, vcc_lo
	v_cmp_le_u32_e32 vcc_lo, s42, v3
	v_cndmask_b32_e64 v3, 0, -1, vcc_lo
	;; [unrolled: 2-line block ×3, first 2 shown]
	v_cmp_eq_u32_e32 vcc_lo, s43, v1
	v_cndmask_b32_e32 v1, v15, v5, vcc_lo
	v_cmp_eq_u32_e32 vcc_lo, s43, v13
	s_delay_alu instid0(VALU_DEP_4) | instskip(NEXT) | instid1(VALU_DEP_3)
	v_cndmask_b32_e32 v3, v20, v3, vcc_lo
	v_cmp_ne_u32_e32 vcc_lo, 0, v1
	s_delay_alu instid0(VALU_DEP_2) | instskip(SKIP_1) | instid1(VALU_DEP_1)
	v_cmp_ne_u32_e64 s0, 0, v3
	v_dual_cndmask_b32 v1, v19, v17, vcc_lo :: v_dual_cndmask_b32 v3, v18, v16, vcc_lo
	v_dual_cndmask_b32 v1, v11, v1, s0 :: v_dual_cndmask_b32 v3, v10, v3, s0
	s_delay_alu instid0(VALU_DEP_1) | instskip(NEXT) | instid1(VALU_DEP_2)
	v_dual_mov_b32 v13, v12 :: v_dual_bitop2_b32 v11, v1, v12 bitop3:0x14
	v_xor_b32_e32 v10, v3, v12
	s_delay_alu instid0(VALU_DEP_1)
	v_sub_nc_u64_e32 v[12:13], v[10:11], v[12:13]
.LBB5_70:
	s_and_not1_saveexec_b32 s0, s1
	s_cbranch_execz .LBB5_72
; %bb.71:
	v_cvt_f32_u32_e32 v1, s12
	s_sub_co_i32 s1, 0, s12
	v_mov_b32_e32 v13, 0
	s_delay_alu instid0(VALU_DEP_2) | instskip(SKIP_1) | instid1(TRANS32_DEP_1)
	v_rcp_iflag_f32_e32 v1, v1
	v_nop
	v_mul_f32_e32 v1, 0x4f7ffffe, v1
	s_delay_alu instid0(VALU_DEP_1) | instskip(NEXT) | instid1(VALU_DEP_1)
	v_cvt_u32_f32_e32 v1, v1
	v_mul_lo_u32 v3, s1, v1
	s_delay_alu instid0(VALU_DEP_1) | instskip(NEXT) | instid1(VALU_DEP_1)
	v_mul_hi_u32 v3, v1, v3
	v_add_nc_u32_e32 v1, v1, v3
	s_delay_alu instid0(VALU_DEP_1) | instskip(NEXT) | instid1(VALU_DEP_1)
	v_mul_hi_u32 v1, v6, v1
	v_mul_lo_u32 v3, v1, s12
	s_delay_alu instid0(VALU_DEP_1) | instskip(NEXT) | instid1(VALU_DEP_1)
	v_sub_nc_u32_e32 v3, v6, v3
	v_subrev_nc_u32_e32 v10, s12, v3
	v_cmp_le_u32_e32 vcc_lo, s12, v3
	s_delay_alu instid0(VALU_DEP_2) | instskip(NEXT) | instid1(VALU_DEP_1)
	v_dual_add_nc_u32 v5, 1, v1 :: v_dual_cndmask_b32 v3, v3, v10, vcc_lo
	v_cndmask_b32_e32 v1, v1, v5, vcc_lo
	s_delay_alu instid0(VALU_DEP_2) | instskip(NEXT) | instid1(VALU_DEP_2)
	v_cmp_le_u32_e32 vcc_lo, s12, v3
	v_add_nc_u32_e32 v5, 1, v1
	s_delay_alu instid0(VALU_DEP_1)
	v_cndmask_b32_e32 v12, v1, v5, vcc_lo
.LBB5_72:
	s_or_b32 exec_lo, exec_lo, s0
	v_mul_u64_e32 v[16:17], s[12:13], v[8:9]
	s_delay_alu instid0(VALU_DEP_2) | instskip(SKIP_2) | instid1(VALU_DEP_2)
	v_min_i64 v[10:11], v[12:13], s[2:3]
	s_mov_b32 s14, 0
	s_mov_b32 s15, exec_lo
	v_add_nc_u64_e32 v[12:13], s[10:11], v[16:17]
	v_cmp_gt_i64_e32 vcc_lo, v[16:17], v[6:7]
	s_delay_alu instid0(VALU_DEP_2) | instskip(SKIP_2) | instid1(SALU_CYCLE_1)
	v_cmp_ge_i64_e64 s0, v[6:7], v[12:13]
	v_mov_b32_e32 v13, s14
	s_or_b32 s0, vcc_lo, s0
	v_cndmask_b32_e64 v12, 0, 1, s0
	s_delay_alu instid0(VALU_DEP_1) | instskip(NEXT) | instid1(VALU_DEP_1)
	v_add_nc_u64_e32 v[12:13], v[8:9], v[12:13]
	v_cmpx_le_i64_e64 v[12:13], v[10:11]
	s_cbranch_execz .LBB5_75
; %bb.73:
	global_load_b64 v[8:9], v2, s[4:5]
	v_mul_u64_e32 v[16:17], s[12:13], v[12:13]
	v_mov_b32_e32 v3, 0
	s_mul_u64 s[0:1], s[12:13], s[18:19]
	s_lshl_b64 s[42:43], s[16:17], 3
	s_lshl_b64 s[0:1], s[0:1], 3
	s_delay_alu instid0(VALU_DEP_1) | instskip(SKIP_3) | instid1(VALU_DEP_4)
	v_mov_b32_e32 v5, v3
	s_wait_xcnt 0x0
	v_add_nc_u64_e32 v[2:3], s[4:5], v[2:3]
	s_sub_nc_u64 s[0:1], s[42:43], s[0:1]
	v_sub_nc_u64_e32 v[6:7], v[6:7], v[16:17]
	v_mul_u64_e32 v[16:17], s[16:17], v[12:13]
	s_delay_alu instid0(VALU_DEP_2) | instskip(NEXT) | instid1(VALU_DEP_2)
	v_mul_u64_e32 v[6:7], s[18:19], v[6:7]
	v_lshlrev_b64_e32 v[16:17], 3, v[16:17]
	s_delay_alu instid0(VALU_DEP_1) | instskip(NEXT) | instid1(VALU_DEP_1)
	v_lshl_add_u64 v[6:7], v[6:7], 3, v[16:17]
	v_add_nc_u64_e32 v[6:7], v[6:7], v[4:5]
	v_add_nc_u64_e32 v[4:5], -1, v[12:13]
	s_delay_alu instid0(VALU_DEP_2)
	v_add_nc_u64_e32 v[6:7], s[6:7], v[6:7]
.LBB5_74:                               ; =>This Inner Loop Header: Depth=1
	global_load_b64 v[12:13], v[6:7], off
	v_add_nc_u64_e32 v[4:5], 1, v[4:5]
	s_wait_xcnt 0x0
	v_add_nc_u64_e32 v[6:7], s[0:1], v[6:7]
	s_delay_alu instid0(VALU_DEP_2)
	v_cmp_ge_i64_e32 vcc_lo, v[4:5], v[10:11]
	s_or_b32 s14, vcc_lo, s14
	s_wait_loadcnt 0x0
	v_add_f64_e32 v[8:9], v[8:9], v[12:13]
	global_store_b64 v[2:3], v[8:9], off
	s_wait_xcnt 0x0
	s_and_not1_b32 exec_lo, exec_lo, s14
	s_cbranch_execnz .LBB5_74
.LBB5_75:
	s_or_b32 exec_lo, exec_lo, s15
	v_add_nc_u32_e32 v0, 0x100, v0
	s_or_b32 exec_lo, exec_lo, s29
	s_delay_alu instid0(SALU_CYCLE_1) | instskip(NEXT) | instid1(VALU_DEP_1)
	s_mov_b32 s0, exec_lo
	v_cmpx_gt_i32_e64 s31, v0
	s_cbranch_execz .LBB5_99
.LBB5_76:
	v_cmp_ne_u32_e32 vcc_lo, 1, v14
	s_cbranch_vccnz .LBB5_83
; %bb.77:
	v_dual_mov_b32 v3, 0 :: v_dual_mov_b32 v4, 0
	v_mov_b32_e32 v2, 0
	s_and_not1_b32 vcc_lo, exec_lo, s33
	s_cbranch_vccnz .LBB5_82
; %bb.78:
	v_dual_mov_b32 v2, 0 :: v_dual_mov_b32 v1, v0
	v_dual_mov_b32 v4, 0 :: v_dual_mov_b32 v3, 0
	s_add_co_i32 s14, s22, 1
	s_mov_b64 s[0:1], 0xffffffffffffffe8
	s_and_b32 s14, s14, 30
	s_add_nc_u64 s[0:1], s[40:41], s[0:1]
.LBB5_79:                               ; =>This Inner Loop Header: Depth=1
	s_clause 0x1
	s_load_b128 s[40:43], s[0:1], 0x1c
	s_load_b64 s[48:49], s[0:1], 0x2c
	s_add_co_i32 s14, s14, -2
	s_delay_alu instid0(SALU_CYCLE_1) | instskip(SKIP_2) | instid1(VALU_DEP_1)
	s_cmp_eq_u32 s14, 0
	s_wait_kmcnt 0x0
	v_mul_hi_u32 v5, s41, v1
	v_add_nc_u32_e32 v5, v1, v5
	s_delay_alu instid0(VALU_DEP_1) | instskip(NEXT) | instid1(VALU_DEP_1)
	v_lshrrev_b32_e32 v5, s42, v5
	v_mul_hi_u32 v6, s48, v5
	v_mul_lo_u32 v7, v5, s40
	s_clause 0x1
	s_load_b128 s[44:47], s[0:1], 0xdc
	s_load_b64 s[40:41], s[0:1], 0xec
	s_wait_xcnt 0x0
	s_add_nc_u64 s[0:1], s[0:1], 24
	s_delay_alu instid0(VALU_DEP_2) | instskip(NEXT) | instid1(VALU_DEP_1)
	v_add_nc_u32_e32 v6, v5, v6
	v_dual_sub_nc_u32 v7, v1, v7 :: v_dual_lshrrev_b32 v1, s49, v6
	s_wait_kmcnt 0x0
	s_delay_alu instid0(VALU_DEP_1) | instskip(NEXT) | instid1(VALU_DEP_2)
	v_mad_u32 v2, v7, s44, v2
	v_mul_lo_u32 v6, v1, s43
	v_mad_u32 v3, v7, s46, v3
	v_mad_u32 v4, v7, s45, v4
	s_delay_alu instid0(VALU_DEP_3) | instskip(NEXT) | instid1(VALU_DEP_1)
	v_sub_nc_u32_e32 v5, v5, v6
	v_mad_u32 v2, v5, s47, v2
	s_delay_alu instid0(VALU_DEP_4) | instskip(NEXT) | instid1(VALU_DEP_4)
	v_mad_u32 v3, v5, s41, v3
	v_mad_u32 v4, v5, s40, v4
	s_cbranch_scc0 .LBB5_79
; %bb.80:
	s_bitcmp1_b32 s22, 0
	s_cselect_b32 s14, -1, 0
	s_delay_alu instid0(SALU_CYCLE_1)
	s_and_b32 vcc_lo, exec_lo, s14
	s_cbranch_vccnz .LBB5_82
; %bb.81:
	s_clause 0x1
	s_load_b96 s[40:42], s[0:1], 0x1c
	s_load_b96 s[44:46], s[0:1], 0xdc
	s_wait_kmcnt 0x0
	v_mul_hi_u32 v5, s41, v1
	s_delay_alu instid0(VALU_DEP_1) | instskip(NEXT) | instid1(VALU_DEP_1)
	v_add_nc_u32_e32 v5, v1, v5
	v_lshrrev_b32_e32 v5, s42, v5
	s_delay_alu instid0(VALU_DEP_1) | instskip(NEXT) | instid1(VALU_DEP_1)
	v_mul_lo_u32 v5, v5, s40
	v_sub_nc_u32_e32 v1, v1, v5
	s_delay_alu instid0(VALU_DEP_1)
	v_mad_u32 v2, v1, s44, v2
	v_mad_u32 v4, v1, s45, v4
	;; [unrolled: 1-line block ×3, first 2 shown]
.LBB5_82:
	s_cbranch_execz .LBB5_84
	s_branch .LBB5_86
.LBB5_83:
                                        ; implicit-def: $vgpr3
                                        ; implicit-def: $vgpr4
                                        ; implicit-def: $vgpr2
.LBB5_84:
	v_mov_b32_e32 v1, 0
	s_and_not1_b32 vcc_lo, exec_lo, s20
	s_delay_alu instid0(VALU_DEP_1) | instskip(NEXT) | instid1(VALU_DEP_1)
	v_mul_u64_e32 v[2:3], s[36:37], v[0:1]
	v_add_nc_u32_e32 v2, v0, v3
	s_delay_alu instid0(VALU_DEP_1) | instskip(NEXT) | instid1(VALU_DEP_1)
	v_lshrrev_b32_e32 v6, s23, v2
	v_mul_lo_u32 v2, v6, s21
	s_delay_alu instid0(VALU_DEP_1) | instskip(NEXT) | instid1(VALU_DEP_1)
	v_sub_nc_u32_e32 v0, v0, v2
	v_mul_lo_u32 v2, v0, s24
	v_mul_lo_u32 v3, v0, s26
	;; [unrolled: 1-line block ×3, first 2 shown]
	s_cbranch_vccnz .LBB5_86
; %bb.85:
	v_mov_b32_e32 v7, v1
	s_delay_alu instid0(VALU_DEP_1) | instskip(NEXT) | instid1(VALU_DEP_1)
	v_mul_u64_e32 v[0:1], s[38:39], v[6:7]
	v_add_nc_u32_e32 v0, v6, v1
	s_delay_alu instid0(VALU_DEP_1) | instskip(NEXT) | instid1(VALU_DEP_1)
	v_lshrrev_b32_e32 v0, s30, v0
	v_mul_lo_u32 v0, v0, s28
	s_delay_alu instid0(VALU_DEP_1) | instskip(NEXT) | instid1(VALU_DEP_1)
	v_sub_nc_u32_e32 v0, v6, v0
	v_mad_u32 v2, v0, s27, v2
	v_mad_u32 v4, v0, s34, v4
	;; [unrolled: 1-line block ×3, first 2 shown]
.LBB5_86:
	global_load_b64 v[0:1], v3, s[8:9]
	v_mov_b64_e32 v[6:7], 0
	s_mov_b32 s1, exec_lo
	s_wait_loadcnt 0x0
	v_cmpx_lt_i64_e64 s[10:11], v[0:1]
	s_cbranch_execz .LBB5_92
; %bb.87:
	v_sub_nc_u64_e64 v[10:11], v[0:1], s[10:11]
                                        ; implicit-def: $vgpr6_vgpr7
	s_mov_b32 s0, exec_lo
	s_delay_alu instid0(VALU_DEP_1) | instskip(NEXT) | instid1(VALU_DEP_1)
	v_dual_mov_b32 v8, 0 :: v_dual_bitop2_b32 v9, s13, v11 bitop3:0x54
	v_cmpx_ne_u64_e32 0, v[8:9]
	s_xor_b32 s20, exec_lo, s0
	s_cbranch_execz .LBB5_89
; %bb.88:
	s_ashr_i32 s8, s13, 31
	s_mov_b32 s29, 0
	s_mov_b32 s9, s8
	v_dual_mov_b32 v13, v8 :: v_dual_ashrrev_i32 v6, 31, v11
	s_add_nc_u64 s[14:15], s[12:13], s[8:9]
	v_mov_b32_e32 v15, v8
	s_xor_b64 s[14:15], s[14:15], s[8:9]
	s_delay_alu instid0(VALU_DEP_2)
	v_mov_b32_e32 v7, v6
	s_cvt_f32_u32 s0, s14
	s_cvt_f32_u32 s9, s15
	s_sub_nc_u64 s[24:25], 0, s[14:15]
	v_mov_b32_e32 v21, v8
	v_add_nc_u64_e32 v[10:11], v[10:11], v[6:7]
	s_fmamk_f32 s0, s9, 0x4f800000, s0
	v_mov_b32_e32 v9, v8
	s_delay_alu instid0(SALU_CYCLE_2) | instskip(NEXT) | instid1(VALU_DEP_2)
	v_s_rcp_f32 s0, s0
	v_xor_b32_e32 v12, v10, v6
	s_delay_alu instid0(VALU_DEP_3) | instskip(SKIP_1) | instid1(TRANS32_DEP_1)
	v_xor_b32_e32 v14, v11, v6
	v_xor_b32_e32 v6, s8, v6
	s_mul_f32 s0, s0, 0x5f7ffffc
	s_delay_alu instid0(SALU_CYCLE_3) | instskip(NEXT) | instid1(SALU_CYCLE_3)
	s_mul_f32 s9, s0, 0x2f800000
	s_trunc_f32 s9, s9
	s_delay_alu instid0(SALU_CYCLE_3) | instskip(SKIP_1) | instid1(SALU_CYCLE_2)
	s_fmamk_f32 s0, s9, 0xcf800000, s0
	s_cvt_u32_f32 s23, s9
	s_cvt_u32_f32 s22, s0
	s_delay_alu instid0(SALU_CYCLE_3) | instskip(NEXT) | instid1(SALU_CYCLE_1)
	s_mul_u64 s[26:27], s[24:25], s[22:23]
	s_mul_hi_u32 s31, s22, s27
	s_mul_i32 s30, s22, s27
	s_mul_hi_u32 s28, s22, s26
	s_mul_i32 s9, s23, s26
	s_add_nc_u64 s[30:31], s[28:29], s[30:31]
	s_mul_hi_u32 s0, s23, s26
	s_mul_hi_u32 s21, s23, s27
	s_add_co_u32 s9, s30, s9
	s_add_co_ci_u32 s28, s31, s0
	s_mul_i32 s26, s23, s27
	s_add_co_ci_u32 s27, s21, 0
	s_delay_alu instid0(SALU_CYCLE_1) | instskip(NEXT) | instid1(SALU_CYCLE_1)
	s_add_nc_u64 s[26:27], s[28:29], s[26:27]
	s_add_co_u32 s22, s22, s26
	s_cselect_b32 s0, -1, 0
	s_delay_alu instid0(SALU_CYCLE_1) | instskip(SKIP_1) | instid1(SALU_CYCLE_1)
	s_cmp_lg_u32 s0, 0
	s_add_co_ci_u32 s23, s23, s27
	s_mul_u64 s[24:25], s[24:25], s[22:23]
	s_delay_alu instid0(SALU_CYCLE_1)
	s_mul_hi_u32 s27, s22, s25
	s_mul_i32 s26, s22, s25
	s_mul_hi_u32 s28, s22, s24
	s_mul_i32 s9, s23, s24
	s_add_nc_u64 s[26:27], s[28:29], s[26:27]
	s_mul_hi_u32 s0, s23, s24
	s_mul_hi_u32 s21, s23, s25
	s_add_co_u32 s9, s26, s9
	s_add_co_ci_u32 s28, s27, s0
	s_mul_i32 s24, s23, s25
	s_add_co_ci_u32 s25, s21, 0
	s_delay_alu instid0(SALU_CYCLE_1) | instskip(NEXT) | instid1(SALU_CYCLE_1)
	s_add_nc_u64 s[24:25], s[28:29], s[24:25]
	s_add_co_u32 s0, s22, s24
	s_cselect_b32 s9, -1, 0
	v_mul_hi_u32 v20, v12, s0
	s_cmp_lg_u32 s9, 0
	s_add_co_ci_u32 s28, s23, s25
	s_mov_b64 s[22:23], 0xffffffff
	v_mul_u64_e32 v[16:17], s[28:29], v[12:13]
	s_and_b64 s[22:23], s[0:1], s[22:23]
	v_mul_u64_e32 v[18:19], s[28:29], v[14:15]
	v_mul_u64_e32 v[10:11], s[22:23], v[14:15]
	s_delay_alu instid0(VALU_DEP_3) | instskip(NEXT) | instid1(VALU_DEP_1)
	v_add_nc_u64_e32 v[16:17], v[20:21], v[16:17]
	v_add_co_u32 v3, vcc_lo, v16, v10
	s_delay_alu instid0(VALU_DEP_2) | instskip(SKIP_1) | instid1(VALU_DEP_1)
	v_add_co_ci_u32_e32 v8, vcc_lo, v17, v11, vcc_lo
	v_add_co_ci_u32_e32 v19, vcc_lo, 0, v19, vcc_lo
	v_add_nc_u64_e32 v[8:9], v[8:9], v[18:19]
	s_delay_alu instid0(VALU_DEP_1) | instskip(NEXT) | instid1(VALU_DEP_1)
	v_mul_u64_e32 v[10:11], s[14:15], v[8:9]
	v_sub_nc_u32_e32 v3, v14, v11
	s_delay_alu instid0(VALU_DEP_2) | instskip(NEXT) | instid1(VALU_DEP_1)
	v_sub_co_u32 v5, vcc_lo, v12, v10
	v_sub_co_ci_u32_e64 v14, null, v14, v11, vcc_lo
	s_delay_alu instid0(VALU_DEP_3) | instskip(NEXT) | instid1(VALU_DEP_3)
	v_subrev_co_ci_u32_e64 v3, null, s15, v3, vcc_lo
	v_sub_co_u32 v7, s0, v5, s14
	v_add_nc_u64_e32 v[12:13], 1, v[8:9]
	s_delay_alu instid0(VALU_DEP_3) | instskip(NEXT) | instid1(VALU_DEP_3)
	v_subrev_co_ci_u32_e64 v3, null, 0, v3, s0
	v_cmp_le_u32_e32 vcc_lo, s14, v7
	v_cndmask_b32_e64 v7, 0, -1, vcc_lo
	s_delay_alu instid0(VALU_DEP_3)
	v_cmp_le_u32_e32 vcc_lo, s15, v3
	v_cndmask_b32_e64 v10, 0, -1, vcc_lo
	v_cmp_le_u32_e32 vcc_lo, s14, v5
	v_cndmask_b32_e64 v5, 0, -1, vcc_lo
	;; [unrolled: 2-line block ×3, first 2 shown]
	v_cmp_eq_u32_e32 vcc_lo, s15, v3
	v_cndmask_b32_e32 v3, v10, v7, vcc_lo
	v_cmp_eq_u32_e32 vcc_lo, s15, v14
	v_add_nc_u64_e32 v[10:11], 2, v[8:9]
	v_cndmask_b32_e32 v5, v15, v5, vcc_lo
	s_delay_alu instid0(VALU_DEP_4) | instskip(NEXT) | instid1(VALU_DEP_2)
	v_cmp_ne_u32_e32 vcc_lo, 0, v3
	v_cmp_ne_u32_e64 s0, 0, v5
	s_delay_alu instid0(VALU_DEP_4) | instskip(NEXT) | instid1(VALU_DEP_1)
	v_dual_cndmask_b32 v3, v13, v11, vcc_lo :: v_dual_cndmask_b32 v5, v12, v10, vcc_lo
                                        ; implicit-def: $vgpr10_vgpr11
	v_dual_cndmask_b32 v3, v9, v3, s0 :: v_dual_cndmask_b32 v5, v8, v5, s0
	s_delay_alu instid0(VALU_DEP_1) | instskip(NEXT) | instid1(VALU_DEP_2)
	v_dual_mov_b32 v7, v6 :: v_dual_bitop2_b32 v9, v3, v6 bitop3:0x14
	v_xor_b32_e32 v8, v5, v6
	s_delay_alu instid0(VALU_DEP_1)
	v_sub_nc_u64_e32 v[6:7], v[8:9], v[6:7]
.LBB5_89:
	s_and_not1_saveexec_b32 s0, s20
	s_cbranch_execz .LBB5_91
; %bb.90:
	v_cvt_f32_u32_e32 v3, s12
	s_sub_co_i32 s8, 0, s12
	s_delay_alu instid0(VALU_DEP_1) | instskip(SKIP_1) | instid1(TRANS32_DEP_1)
	v_rcp_iflag_f32_e32 v3, v3
	v_nop
	v_mul_f32_e32 v3, 0x4f7ffffe, v3
	s_delay_alu instid0(VALU_DEP_1) | instskip(NEXT) | instid1(VALU_DEP_1)
	v_cvt_u32_f32_e32 v3, v3
	v_mul_lo_u32 v5, s8, v3
	s_delay_alu instid0(VALU_DEP_1) | instskip(NEXT) | instid1(VALU_DEP_1)
	v_mul_hi_u32 v5, v3, v5
	v_add_nc_u32_e32 v3, v3, v5
	s_delay_alu instid0(VALU_DEP_1) | instskip(NEXT) | instid1(VALU_DEP_1)
	v_mul_hi_u32 v3, v10, v3
	v_mul_lo_u32 v5, v3, s12
	s_delay_alu instid0(VALU_DEP_1) | instskip(NEXT) | instid1(VALU_DEP_1)
	v_dual_add_nc_u32 v6, 1, v3 :: v_dual_sub_nc_u32 v5, v10, v5
	v_subrev_nc_u32_e32 v7, s12, v5
	v_cmp_le_u32_e32 vcc_lo, s12, v5
	s_delay_alu instid0(VALU_DEP_2) | instskip(NEXT) | instid1(VALU_DEP_4)
	v_dual_cndmask_b32 v5, v5, v7, vcc_lo :: v_dual_mov_b32 v7, 0
	v_cndmask_b32_e32 v3, v3, v6, vcc_lo
	s_delay_alu instid0(VALU_DEP_2) | instskip(NEXT) | instid1(VALU_DEP_2)
	v_cmp_le_u32_e32 vcc_lo, s12, v5
	v_add_nc_u32_e32 v6, 1, v3
	s_delay_alu instid0(VALU_DEP_1)
	v_cndmask_b32_e32 v6, v3, v6, vcc_lo
.LBB5_91:
	s_or_b32 exec_lo, exec_lo, s0
.LBB5_92:
	s_delay_alu instid0(SALU_CYCLE_1) | instskip(SKIP_2) | instid1(VALU_DEP_1)
	s_or_b32 exec_lo, exec_lo, s1
	v_dual_mov_b32 v8, 0 :: v_dual_bitop2_b32 v9, s13, v1 bitop3:0x54
                                        ; implicit-def: $vgpr10_vgpr11
	s_mov_b32 s0, exec_lo
	v_cmpx_ne_u64_e32 0, v[8:9]
	s_xor_b32 s1, exec_lo, s0
	s_cbranch_execz .LBB5_94
; %bb.93:
	s_ashr_i32 s8, s13, 31
	s_mov_b32 s27, 0
	s_mov_b32 s9, s8
	v_dual_mov_b32 v15, v8 :: v_dual_ashrrev_i32 v10, 31, v1
	s_add_nc_u64 s[14:15], s[12:13], s[8:9]
	v_dual_mov_b32 v23, v8 :: v_dual_mov_b32 v9, v8
	s_xor_b64 s[14:15], s[14:15], s[8:9]
	s_delay_alu instid0(VALU_DEP_2) | instskip(SKIP_3) | instid1(VALU_DEP_1)
	v_mov_b32_e32 v11, v10
	s_cvt_f32_u32 s0, s14
	s_cvt_f32_u32 s9, s15
	s_sub_nc_u64 s[22:23], 0, s[14:15]
	v_add_nc_u64_e32 v[12:13], v[0:1], v[10:11]
	s_delay_alu instid0(SALU_CYCLE_1) | instskip(SKIP_1) | instid1(SALU_CYCLE_2)
	s_fmamk_f32 s0, s9, 0x4f800000, s0
	v_mov_b32_e32 v17, v8
	v_s_rcp_f32 s0, s0
	s_delay_alu instid0(VALU_DEP_2) | instskip(NEXT) | instid1(VALU_DEP_3)
	v_xor_b32_e32 v14, v12, v10
	v_xor_b32_e32 v16, v13, v10
	;; [unrolled: 1-line block ×3, first 2 shown]
	s_delay_alu instid0(TRANS32_DEP_1) | instskip(NEXT) | instid1(SALU_CYCLE_3)
	s_mul_f32 s0, s0, 0x5f7ffffc
	s_mul_f32 s9, s0, 0x2f800000
	s_delay_alu instid0(SALU_CYCLE_3) | instskip(NEXT) | instid1(SALU_CYCLE_3)
	s_trunc_f32 s9, s9
	s_fmamk_f32 s0, s9, 0xcf800000, s0
	s_cvt_u32_f32 s21, s9
	s_delay_alu instid0(SALU_CYCLE_2) | instskip(NEXT) | instid1(SALU_CYCLE_3)
	s_cvt_u32_f32 s20, s0
	s_mul_u64 s[24:25], s[22:23], s[20:21]
	s_delay_alu instid0(SALU_CYCLE_1)
	s_mul_hi_u32 s29, s20, s25
	s_mul_i32 s28, s20, s25
	s_mul_hi_u32 s26, s20, s24
	s_mul_i32 s9, s21, s24
	s_add_nc_u64 s[28:29], s[26:27], s[28:29]
	s_mul_hi_u32 s0, s21, s24
	s_mul_hi_u32 s30, s21, s25
	s_add_co_u32 s9, s28, s9
	s_add_co_ci_u32 s26, s29, s0
	s_mul_i32 s24, s21, s25
	s_add_co_ci_u32 s25, s30, 0
	s_delay_alu instid0(SALU_CYCLE_1) | instskip(NEXT) | instid1(SALU_CYCLE_1)
	s_add_nc_u64 s[24:25], s[26:27], s[24:25]
	s_add_co_u32 s20, s20, s24
	s_cselect_b32 s0, -1, 0
	s_delay_alu instid0(SALU_CYCLE_1) | instskip(SKIP_1) | instid1(SALU_CYCLE_1)
	s_cmp_lg_u32 s0, 0
	s_add_co_ci_u32 s21, s21, s25
	s_mul_u64 s[22:23], s[22:23], s[20:21]
	s_delay_alu instid0(SALU_CYCLE_1)
	s_mul_hi_u32 s25, s20, s23
	s_mul_i32 s24, s20, s23
	s_mul_hi_u32 s26, s20, s22
	s_mul_i32 s9, s21, s22
	s_add_nc_u64 s[24:25], s[26:27], s[24:25]
	s_mul_hi_u32 s0, s21, s22
	s_mul_hi_u32 s28, s21, s23
	s_add_co_u32 s9, s24, s9
	s_add_co_ci_u32 s26, s25, s0
	s_mul_i32 s22, s21, s23
	s_add_co_ci_u32 s23, s28, 0
	s_delay_alu instid0(SALU_CYCLE_1) | instskip(NEXT) | instid1(SALU_CYCLE_1)
	s_add_nc_u64 s[22:23], s[26:27], s[22:23]
	s_add_co_u32 s0, s20, s22
	s_cselect_b32 s9, -1, 0
	v_mul_hi_u32 v22, v14, s0
	s_cmp_lg_u32 s9, 0
	s_add_co_ci_u32 s26, s21, s23
	s_mov_b64 s[20:21], 0xffffffff
	v_mul_u64_e32 v[18:19], s[26:27], v[14:15]
	s_and_b64 s[20:21], s[0:1], s[20:21]
	v_mul_u64_e32 v[20:21], s[26:27], v[16:17]
	v_mul_u64_e32 v[12:13], s[20:21], v[16:17]
	s_delay_alu instid0(VALU_DEP_3) | instskip(NEXT) | instid1(VALU_DEP_1)
	v_add_nc_u64_e32 v[18:19], v[22:23], v[18:19]
	v_add_co_u32 v3, vcc_lo, v18, v12
	s_delay_alu instid0(VALU_DEP_2) | instskip(SKIP_1) | instid1(VALU_DEP_1)
	v_add_co_ci_u32_e32 v8, vcc_lo, v19, v13, vcc_lo
	v_add_co_ci_u32_e32 v21, vcc_lo, 0, v21, vcc_lo
	v_add_nc_u64_e32 v[8:9], v[8:9], v[20:21]
	s_delay_alu instid0(VALU_DEP_1) | instskip(NEXT) | instid1(VALU_DEP_1)
	v_mul_u64_e32 v[12:13], s[14:15], v[8:9]
	v_sub_co_u32 v5, vcc_lo, v14, v12
	v_add_nc_u64_e32 v[14:15], 1, v[8:9]
	s_delay_alu instid0(VALU_DEP_3) | instskip(SKIP_1) | instid1(VALU_DEP_4)
	v_sub_nc_u32_e32 v3, v16, v13
	v_sub_co_ci_u32_e64 v16, null, v16, v13, vcc_lo
	v_sub_co_u32 v11, s0, v5, s14
	s_delay_alu instid0(VALU_DEP_3) | instskip(NEXT) | instid1(VALU_DEP_2)
	v_subrev_co_ci_u32_e64 v3, null, s15, v3, vcc_lo
	v_cmp_le_u32_e32 vcc_lo, s14, v11
	s_delay_alu instid0(VALU_DEP_2) | instskip(SKIP_1) | instid1(VALU_DEP_2)
	v_subrev_co_ci_u32_e64 v3, null, 0, v3, s0
	v_cndmask_b32_e64 v11, 0, -1, vcc_lo
	v_cmp_le_u32_e32 vcc_lo, s15, v3
	v_cndmask_b32_e64 v12, 0, -1, vcc_lo
	v_cmp_le_u32_e32 vcc_lo, s14, v5
	;; [unrolled: 2-line block ×3, first 2 shown]
	v_cndmask_b32_e64 v17, 0, -1, vcc_lo
	v_cmp_eq_u32_e32 vcc_lo, s15, v3
	v_cndmask_b32_e32 v3, v12, v11, vcc_lo
	v_cmp_eq_u32_e32 vcc_lo, s15, v16
	v_add_nc_u64_e32 v[12:13], 2, v[8:9]
	v_cndmask_b32_e32 v5, v17, v5, vcc_lo
	s_delay_alu instid0(VALU_DEP_4) | instskip(NEXT) | instid1(VALU_DEP_2)
	v_cmp_ne_u32_e32 vcc_lo, 0, v3
	v_cmp_ne_u32_e64 s0, 0, v5
	s_delay_alu instid0(VALU_DEP_4) | instskip(NEXT) | instid1(VALU_DEP_1)
	v_dual_cndmask_b32 v3, v15, v13, vcc_lo :: v_dual_cndmask_b32 v5, v14, v12, vcc_lo
	v_dual_cndmask_b32 v3, v9, v3, s0 :: v_dual_cndmask_b32 v5, v8, v5, s0
	s_delay_alu instid0(VALU_DEP_1) | instskip(NEXT) | instid1(VALU_DEP_2)
	v_dual_mov_b32 v11, v10 :: v_dual_bitop2_b32 v9, v3, v10 bitop3:0x14
	v_xor_b32_e32 v8, v5, v10
	s_delay_alu instid0(VALU_DEP_1)
	v_sub_nc_u64_e32 v[10:11], v[8:9], v[10:11]
.LBB5_94:
	s_and_not1_saveexec_b32 s0, s1
	s_cbranch_execz .LBB5_96
; %bb.95:
	v_cvt_f32_u32_e32 v3, s12
	s_sub_co_i32 s1, 0, s12
	v_mov_b32_e32 v11, 0
	s_delay_alu instid0(VALU_DEP_2) | instskip(SKIP_1) | instid1(TRANS32_DEP_1)
	v_rcp_iflag_f32_e32 v3, v3
	v_nop
	v_mul_f32_e32 v3, 0x4f7ffffe, v3
	s_delay_alu instid0(VALU_DEP_1) | instskip(NEXT) | instid1(VALU_DEP_1)
	v_cvt_u32_f32_e32 v3, v3
	v_mul_lo_u32 v5, s1, v3
	s_delay_alu instid0(VALU_DEP_1) | instskip(NEXT) | instid1(VALU_DEP_1)
	v_mul_hi_u32 v5, v3, v5
	v_add_nc_u32_e32 v3, v3, v5
	s_delay_alu instid0(VALU_DEP_1) | instskip(NEXT) | instid1(VALU_DEP_1)
	v_mul_hi_u32 v3, v0, v3
	v_mul_lo_u32 v5, v3, s12
	s_delay_alu instid0(VALU_DEP_1) | instskip(NEXT) | instid1(VALU_DEP_1)
	v_sub_nc_u32_e32 v5, v0, v5
	v_subrev_nc_u32_e32 v9, s12, v5
	v_cmp_le_u32_e32 vcc_lo, s12, v5
	s_delay_alu instid0(VALU_DEP_2) | instskip(NEXT) | instid1(VALU_DEP_1)
	v_dual_cndmask_b32 v5, v5, v9 :: v_dual_add_nc_u32 v8, 1, v3
	v_cndmask_b32_e32 v3, v3, v8, vcc_lo
	s_delay_alu instid0(VALU_DEP_2) | instskip(NEXT) | instid1(VALU_DEP_2)
	v_cmp_le_u32_e32 vcc_lo, s12, v5
	v_add_nc_u32_e32 v8, 1, v3
	s_delay_alu instid0(VALU_DEP_1)
	v_cndmask_b32_e32 v10, v3, v8, vcc_lo
.LBB5_96:
	s_or_b32 exec_lo, exec_lo, s0
	v_mul_u64_e32 v[12:13], s[12:13], v[6:7]
	s_delay_alu instid0(VALU_DEP_2) | instskip(SKIP_1) | instid1(VALU_DEP_2)
	v_min_i64 v[8:9], v[10:11], s[2:3]
	s_mov_b32 s2, 0
	v_add_nc_u64_e32 v[10:11], s[10:11], v[12:13]
	v_cmp_gt_i64_e32 vcc_lo, v[12:13], v[0:1]
	s_delay_alu instid0(VALU_DEP_2) | instskip(SKIP_2) | instid1(SALU_CYCLE_1)
	v_cmp_ge_i64_e64 s0, v[0:1], v[10:11]
	v_mov_b32_e32 v11, s2
	s_or_b32 s0, vcc_lo, s0
	v_cndmask_b32_e64 v10, 0, 1, s0
	s_delay_alu instid0(VALU_DEP_1) | instskip(NEXT) | instid1(VALU_DEP_1)
	v_add_nc_u64_e32 v[10:11], v[6:7], v[10:11]
	v_cmp_le_i64_e32 vcc_lo, v[10:11], v[8:9]
	s_and_b32 exec_lo, exec_lo, vcc_lo
	s_cbranch_execz .LBB5_99
; %bb.97:
	global_load_b64 v[6:7], v2, s[4:5]
	v_mul_u64_e32 v[12:13], s[12:13], v[10:11]
	v_mov_b32_e32 v3, 0
	s_mul_u64 s[0:1], s[12:13], s[18:19]
	s_delay_alu instid0(SALU_CYCLE_1) | instskip(NEXT) | instid1(VALU_DEP_1)
	s_lshl_b64 s[0:1], s[0:1], 3
	v_mov_b32_e32 v5, v3
	s_delay_alu instid0(VALU_DEP_3) | instskip(SKIP_1) | instid1(VALU_DEP_2)
	v_sub_nc_u64_e32 v[0:1], v[0:1], v[12:13]
	v_mul_u64_e32 v[12:13], s[16:17], v[10:11]
	v_mul_u64_e32 v[0:1], s[18:19], v[0:1]
	s_delay_alu instid0(VALU_DEP_2) | instskip(NEXT) | instid1(VALU_DEP_1)
	v_lshlrev_b64_e32 v[12:13], 3, v[12:13]
	v_lshl_add_u64 v[0:1], v[0:1], 3, v[12:13]
	s_delay_alu instid0(VALU_DEP_1) | instskip(SKIP_4) | instid1(SALU_CYCLE_1)
	v_add_nc_u64_e32 v[4:5], v[0:1], v[4:5]
	v_add_nc_u64_e32 v[0:1], s[4:5], v[2:3]
	s_wait_xcnt 0x0
	v_add_nc_u64_e32 v[2:3], -1, v[10:11]
	s_lshl_b64 s[4:5], s[16:17], 3
	s_sub_nc_u64 s[0:1], s[4:5], s[0:1]
	s_delay_alu instid0(VALU_DEP_3)
	v_add_nc_u64_e32 v[4:5], s[6:7], v[4:5]
.LBB5_98:                               ; =>This Inner Loop Header: Depth=1
	global_load_b64 v[10:11], v[4:5], off
	v_add_nc_u64_e32 v[2:3], 1, v[2:3]
	s_wait_xcnt 0x0
	v_add_nc_u64_e32 v[4:5], s[0:1], v[4:5]
	s_delay_alu instid0(VALU_DEP_2)
	v_cmp_ge_i64_e32 vcc_lo, v[2:3], v[8:9]
	s_or_b32 s2, vcc_lo, s2
	s_wait_loadcnt 0x0
	v_add_f64_e32 v[6:7], v[6:7], v[10:11]
	global_store_b64 v[0:1], v[6:7], off
	s_wait_xcnt 0x0
	s_and_not1_b32 exec_lo, exec_lo, s2
	s_cbranch_execnz .LBB5_98
.LBB5_99:
	s_endpgm
	.section	.rodata,"a",@progbits
	.p2align	6, 0x0
	.amdhsa_kernel _ZN2at6native12_GLOBAL__N_135_unfold_backward_elementwise_kernelILi256ELi4EZNS1_32_unfold_backward_internal_kernelIdEEvRNS_14TensorIteratorEllllllEUliE_EEviT1_
		.amdhsa_group_segment_fixed_size 0
		.amdhsa_private_segment_fixed_size 0
		.amdhsa_kernarg_size 464
		.amdhsa_user_sgpr_count 2
		.amdhsa_user_sgpr_dispatch_ptr 0
		.amdhsa_user_sgpr_queue_ptr 0
		.amdhsa_user_sgpr_kernarg_segment_ptr 1
		.amdhsa_user_sgpr_dispatch_id 0
		.amdhsa_user_sgpr_kernarg_preload_length 0
		.amdhsa_user_sgpr_kernarg_preload_offset 0
		.amdhsa_user_sgpr_private_segment_size 0
		.amdhsa_wavefront_size32 1
		.amdhsa_uses_dynamic_stack 0
		.amdhsa_enable_private_segment 0
		.amdhsa_system_sgpr_workgroup_id_x 1
		.amdhsa_system_sgpr_workgroup_id_y 0
		.amdhsa_system_sgpr_workgroup_id_z 0
		.amdhsa_system_sgpr_workgroup_info 0
		.amdhsa_system_vgpr_workitem_id 0
		.amdhsa_next_free_vgpr 28
		.amdhsa_next_free_sgpr 56
		.amdhsa_named_barrier_count 0
		.amdhsa_reserve_vcc 1
		.amdhsa_float_round_mode_32 0
		.amdhsa_float_round_mode_16_64 0
		.amdhsa_float_denorm_mode_32 3
		.amdhsa_float_denorm_mode_16_64 3
		.amdhsa_fp16_overflow 0
		.amdhsa_memory_ordered 1
		.amdhsa_forward_progress 1
		.amdhsa_inst_pref_size 76
		.amdhsa_round_robin_scheduling 0
		.amdhsa_exception_fp_ieee_invalid_op 0
		.amdhsa_exception_fp_denorm_src 0
		.amdhsa_exception_fp_ieee_div_zero 0
		.amdhsa_exception_fp_ieee_overflow 0
		.amdhsa_exception_fp_ieee_underflow 0
		.amdhsa_exception_fp_ieee_inexact 0
		.amdhsa_exception_int_div_zero 0
	.end_amdhsa_kernel
	.section	.text._ZN2at6native12_GLOBAL__N_135_unfold_backward_elementwise_kernelILi256ELi4EZNS1_32_unfold_backward_internal_kernelIdEEvRNS_14TensorIteratorEllllllEUliE_EEviT1_,"axG",@progbits,_ZN2at6native12_GLOBAL__N_135_unfold_backward_elementwise_kernelILi256ELi4EZNS1_32_unfold_backward_internal_kernelIdEEvRNS_14TensorIteratorEllllllEUliE_EEviT1_,comdat
.Lfunc_end5:
	.size	_ZN2at6native12_GLOBAL__N_135_unfold_backward_elementwise_kernelILi256ELi4EZNS1_32_unfold_backward_internal_kernelIdEEvRNS_14TensorIteratorEllllllEUliE_EEviT1_, .Lfunc_end5-_ZN2at6native12_GLOBAL__N_135_unfold_backward_elementwise_kernelILi256ELi4EZNS1_32_unfold_backward_internal_kernelIdEEvRNS_14TensorIteratorEllllllEUliE_EEviT1_
                                        ; -- End function
	.set _ZN2at6native12_GLOBAL__N_135_unfold_backward_elementwise_kernelILi256ELi4EZNS1_32_unfold_backward_internal_kernelIdEEvRNS_14TensorIteratorEllllllEUliE_EEviT1_.num_vgpr, 28
	.set _ZN2at6native12_GLOBAL__N_135_unfold_backward_elementwise_kernelILi256ELi4EZNS1_32_unfold_backward_internal_kernelIdEEvRNS_14TensorIteratorEllllllEUliE_EEviT1_.num_agpr, 0
	.set _ZN2at6native12_GLOBAL__N_135_unfold_backward_elementwise_kernelILi256ELi4EZNS1_32_unfold_backward_internal_kernelIdEEvRNS_14TensorIteratorEllllllEUliE_EEviT1_.numbered_sgpr, 56
	.set _ZN2at6native12_GLOBAL__N_135_unfold_backward_elementwise_kernelILi256ELi4EZNS1_32_unfold_backward_internal_kernelIdEEvRNS_14TensorIteratorEllllllEUliE_EEviT1_.num_named_barrier, 0
	.set _ZN2at6native12_GLOBAL__N_135_unfold_backward_elementwise_kernelILi256ELi4EZNS1_32_unfold_backward_internal_kernelIdEEvRNS_14TensorIteratorEllllllEUliE_EEviT1_.private_seg_size, 0
	.set _ZN2at6native12_GLOBAL__N_135_unfold_backward_elementwise_kernelILi256ELi4EZNS1_32_unfold_backward_internal_kernelIdEEvRNS_14TensorIteratorEllllllEUliE_EEviT1_.uses_vcc, 1
	.set _ZN2at6native12_GLOBAL__N_135_unfold_backward_elementwise_kernelILi256ELi4EZNS1_32_unfold_backward_internal_kernelIdEEvRNS_14TensorIteratorEllllllEUliE_EEviT1_.uses_flat_scratch, 0
	.set _ZN2at6native12_GLOBAL__N_135_unfold_backward_elementwise_kernelILi256ELi4EZNS1_32_unfold_backward_internal_kernelIdEEvRNS_14TensorIteratorEllllllEUliE_EEviT1_.has_dyn_sized_stack, 0
	.set _ZN2at6native12_GLOBAL__N_135_unfold_backward_elementwise_kernelILi256ELi4EZNS1_32_unfold_backward_internal_kernelIdEEvRNS_14TensorIteratorEllllllEUliE_EEviT1_.has_recursion, 0
	.set _ZN2at6native12_GLOBAL__N_135_unfold_backward_elementwise_kernelILi256ELi4EZNS1_32_unfold_backward_internal_kernelIdEEvRNS_14TensorIteratorEllllllEUliE_EEviT1_.has_indirect_call, 0
	.section	.AMDGPU.csdata,"",@progbits
; Kernel info:
; codeLenInByte = 9716
; TotalNumSgprs: 58
; NumVgprs: 28
; ScratchSize: 0
; MemoryBound: 0
; FloatMode: 240
; IeeeMode: 1
; LDSByteSize: 0 bytes/workgroup (compile time only)
; SGPRBlocks: 0
; VGPRBlocks: 1
; NumSGPRsForWavesPerEU: 58
; NumVGPRsForWavesPerEU: 28
; NamedBarCnt: 0
; Occupancy: 16
; WaveLimiterHint : 1
; COMPUTE_PGM_RSRC2:SCRATCH_EN: 0
; COMPUTE_PGM_RSRC2:USER_SGPR: 2
; COMPUTE_PGM_RSRC2:TRAP_HANDLER: 0
; COMPUTE_PGM_RSRC2:TGID_X_EN: 1
; COMPUTE_PGM_RSRC2:TGID_Y_EN: 0
; COMPUTE_PGM_RSRC2:TGID_Z_EN: 0
; COMPUTE_PGM_RSRC2:TIDIG_COMP_CNT: 0
	.section	.text._ZN2at6native12_GLOBAL__N_135_unfold_backward_elementwise_kernelILi256ELi4EZNS1_32_unfold_backward_internal_kernelIfEEvRNS_14TensorIteratorEllllllEUliE_EEviT1_,"axG",@progbits,_ZN2at6native12_GLOBAL__N_135_unfold_backward_elementwise_kernelILi256ELi4EZNS1_32_unfold_backward_internal_kernelIfEEvRNS_14TensorIteratorEllllllEUliE_EEviT1_,comdat
	.globl	_ZN2at6native12_GLOBAL__N_135_unfold_backward_elementwise_kernelILi256ELi4EZNS1_32_unfold_backward_internal_kernelIfEEvRNS_14TensorIteratorEllllllEUliE_EEviT1_ ; -- Begin function _ZN2at6native12_GLOBAL__N_135_unfold_backward_elementwise_kernelILi256ELi4EZNS1_32_unfold_backward_internal_kernelIfEEvRNS_14TensorIteratorEllllllEUliE_EEviT1_
	.p2align	8
	.type	_ZN2at6native12_GLOBAL__N_135_unfold_backward_elementwise_kernelILi256ELi4EZNS1_32_unfold_backward_internal_kernelIfEEvRNS_14TensorIteratorEllllllEUliE_EEviT1_,@function
_ZN2at6native12_GLOBAL__N_135_unfold_backward_elementwise_kernelILi256ELi4EZNS1_32_unfold_backward_internal_kernelIfEEvRNS_14TensorIteratorEllllllEUliE_EEviT1_: ; @_ZN2at6native12_GLOBAL__N_135_unfold_backward_elementwise_kernelILi256ELi4EZNS1_32_unfold_backward_internal_kernelIfEEvRNS_14TensorIteratorEllllllEUliE_EEviT1_
; %bb.0:
	s_clause 0x2
	s_load_b128 s[20:23], s[0:1], 0x8
	s_load_b32 s31, s[0:1], 0x0
	s_load_b512 s[4:19], s[0:1], 0x190
	s_bfe_u32 s3, ttmp6, 0x4000c
	s_clause 0x2
	s_load_b96 s[28:30], s[0:1], 0x18
	s_load_b128 s[24:27], s[0:1], 0xcc
	s_load_b64 s[34:35], s[0:1], 0xdc
	s_add_co_i32 s3, s3, 1
	s_and_b32 s2, ttmp6, 15
	s_mul_i32 s3, ttmp9, s3
	s_getreg_b32 s33, hwreg(HW_REG_IB_STS2, 6, 4)
	s_add_co_i32 s2, s2, s3
	s_add_nc_u64 s[40:41], s[0:1], 8
	s_cmp_eq_u32 s33, 0
	s_mov_b32 s37, 0
	s_cselect_b32 s2, ttmp9, s2
	s_mov_b32 s42, -1
	v_lshl_or_b32 v0, s2, 10, v0
	s_mov_b32 s39, s37
	s_wait_kmcnt 0x0
	v_sub_co_u32 v1, s3, s20, 1
	s_mov_b32 s36, s22
	s_xor_b32 s33, s3, -1
	s_mov_b32 s38, s29
	v_readfirstlane_b32 s1, v1
	v_cmp_lt_u32_e32 vcc_lo, 1, v1
	s_add_nc_u64 s[2:3], s[14:15], -1
	s_mov_b32 s29, exec_lo
	s_min_u32 s22, s1, 15
	v_cndmask_b32_e64 v14, 0, 1, vcc_lo
	s_cmp_gt_u32 s20, 1
	s_cselect_b32 s20, -1, 0
	v_cmpx_gt_i32_e64 s31, v0
	s_cbranch_execnz .LBB6_4
; %bb.1:
	s_or_b32 exec_lo, exec_lo, s29
	s_delay_alu instid0(SALU_CYCLE_1)
	s_mov_b32 s29, exec_lo
	v_cmpx_gt_i32_e64 s31, v0
	s_cbranch_execnz .LBB6_28
.LBB6_2:
	s_or_b32 exec_lo, exec_lo, s29
	s_delay_alu instid0(SALU_CYCLE_1)
	s_mov_b32 s29, exec_lo
	v_cmpx_gt_i32_e64 s31, v0
	s_cbranch_execnz .LBB6_52
.LBB6_3:
	s_or_b32 exec_lo, exec_lo, s29
	s_delay_alu instid0(SALU_CYCLE_1)
	s_mov_b32 s0, exec_lo
	v_cmpx_gt_i32_e64 s31, v0
	s_cbranch_execnz .LBB6_76
	s_branch .LBB6_99
.LBB6_4:
	s_and_not1_b32 vcc_lo, exec_lo, vcc_lo
                                        ; implicit-def: $vgpr3
                                        ; implicit-def: $vgpr4
                                        ; implicit-def: $vgpr2
	s_cbranch_vccnz .LBB6_11
; %bb.5:
	v_dual_mov_b32 v3, 0 :: v_dual_mov_b32 v4, 0
	v_mov_b32_e32 v2, 0
	s_and_not1_b32 vcc_lo, exec_lo, s33
	s_cbranch_vccnz .LBB6_10
; %bb.6:
	v_dual_mov_b32 v2, 0 :: v_dual_mov_b32 v1, v0
	v_dual_mov_b32 v4, 0 :: v_dual_mov_b32 v3, 0
	s_add_co_i32 s14, s22, 1
	s_mov_b64 s[0:1], 0xffffffffffffffe8
	s_and_b32 s14, s14, 30
	s_add_nc_u64 s[0:1], s[40:41], s[0:1]
.LBB6_7:                                ; =>This Inner Loop Header: Depth=1
	s_clause 0x1
	s_load_b128 s[44:47], s[0:1], 0x1c
	s_load_b64 s[42:43], s[0:1], 0x2c
	s_add_co_i32 s14, s14, -2
	s_delay_alu instid0(SALU_CYCLE_1) | instskip(SKIP_2) | instid1(VALU_DEP_1)
	s_cmp_lg_u32 s14, 0
	s_wait_kmcnt 0x0
	v_mul_hi_u32 v5, s45, v1
	v_add_nc_u32_e32 v5, v1, v5
	s_delay_alu instid0(VALU_DEP_1) | instskip(NEXT) | instid1(VALU_DEP_1)
	v_lshrrev_b32_e32 v5, s46, v5
	v_mul_hi_u32 v6, s42, v5
	v_mul_lo_u32 v7, v5, s44
	s_clause 0x1
	s_load_b128 s[48:51], s[0:1], 0xdc
	s_load_b64 s[44:45], s[0:1], 0xec
	s_wait_xcnt 0x0
	s_add_nc_u64 s[0:1], s[0:1], 24
	s_delay_alu instid0(VALU_DEP_2) | instskip(NEXT) | instid1(VALU_DEP_1)
	v_add_nc_u32_e32 v6, v5, v6
	v_dual_sub_nc_u32 v7, v1, v7 :: v_dual_lshrrev_b32 v1, s43, v6
	s_wait_kmcnt 0x0
	s_delay_alu instid0(VALU_DEP_1) | instskip(NEXT) | instid1(VALU_DEP_2)
	v_mad_u32 v2, v7, s48, v2
	v_mul_lo_u32 v6, v1, s47
	v_mad_u32 v3, v7, s50, v3
	v_mad_u32 v4, v7, s49, v4
	s_delay_alu instid0(VALU_DEP_3) | instskip(NEXT) | instid1(VALU_DEP_1)
	v_sub_nc_u32_e32 v5, v5, v6
	v_mad_u32 v2, v5, s51, v2
	s_delay_alu instid0(VALU_DEP_4) | instskip(NEXT) | instid1(VALU_DEP_4)
	v_mad_u32 v3, v5, s45, v3
	v_mad_u32 v4, v5, s44, v4
	s_cbranch_scc1 .LBB6_7
; %bb.8:
	s_bitcmp1_b32 s22, 0
	s_cselect_b32 s14, -1, 0
	s_delay_alu instid0(SALU_CYCLE_1)
	s_and_b32 vcc_lo, exec_lo, s14
	s_cbranch_vccnz .LBB6_10
; %bb.9:
	s_clause 0x1
	s_load_b96 s[44:46], s[0:1], 0x1c
	s_load_b96 s[48:50], s[0:1], 0xdc
	s_wait_kmcnt 0x0
	v_mul_hi_u32 v5, s45, v1
	s_delay_alu instid0(VALU_DEP_1) | instskip(NEXT) | instid1(VALU_DEP_1)
	v_add_nc_u32_e32 v5, v1, v5
	v_lshrrev_b32_e32 v5, s46, v5
	s_delay_alu instid0(VALU_DEP_1) | instskip(NEXT) | instid1(VALU_DEP_1)
	v_mul_lo_u32 v5, v5, s44
	v_sub_nc_u32_e32 v1, v1, v5
	s_delay_alu instid0(VALU_DEP_1)
	v_mad_u32 v2, v1, s48, v2
	v_mad_u32 v4, v1, s49, v4
	;; [unrolled: 1-line block ×3, first 2 shown]
.LBB6_10:
	s_mov_b32 s42, 0
.LBB6_11:
	s_delay_alu instid0(SALU_CYCLE_1)
	s_and_not1_b32 vcc_lo, exec_lo, s42
	s_cbranch_vccnz .LBB6_14
; %bb.12:
	v_mov_b32_e32 v1, 0
	s_and_not1_b32 vcc_lo, exec_lo, s20
	s_delay_alu instid0(VALU_DEP_1) | instskip(NEXT) | instid1(VALU_DEP_1)
	v_mul_u64_e32 v[2:3], s[36:37], v[0:1]
	v_add_nc_u32_e32 v2, v0, v3
	s_delay_alu instid0(VALU_DEP_1) | instskip(NEXT) | instid1(VALU_DEP_1)
	v_lshrrev_b32_e32 v6, s23, v2
	v_mul_lo_u32 v2, v6, s21
	s_delay_alu instid0(VALU_DEP_1) | instskip(NEXT) | instid1(VALU_DEP_1)
	v_sub_nc_u32_e32 v4, v0, v2
	v_mul_lo_u32 v2, v4, s24
	v_mul_lo_u32 v3, v4, s26
	;; [unrolled: 1-line block ×3, first 2 shown]
	s_cbranch_vccnz .LBB6_14
; %bb.13:
	v_mov_b32_e32 v7, v1
	s_delay_alu instid0(VALU_DEP_1) | instskip(NEXT) | instid1(VALU_DEP_1)
	v_mul_u64_e32 v[8:9], s[38:39], v[6:7]
	v_add_nc_u32_e32 v1, v6, v9
	s_delay_alu instid0(VALU_DEP_1) | instskip(NEXT) | instid1(VALU_DEP_1)
	v_lshrrev_b32_e32 v1, s30, v1
	v_mul_lo_u32 v1, v1, s28
	s_delay_alu instid0(VALU_DEP_1) | instskip(NEXT) | instid1(VALU_DEP_1)
	v_sub_nc_u32_e32 v1, v6, v1
	v_mad_u32 v2, v1, s27, v2
	v_mad_u32 v4, v1, s34, v4
	;; [unrolled: 1-line block ×3, first 2 shown]
.LBB6_14:
	global_load_b64 v[6:7], v3, s[8:9]
	v_mov_b64_e32 v[8:9], 0
	s_mov_b32 s1, exec_lo
	s_wait_loadcnt 0x0
	v_cmpx_lt_i64_e64 s[10:11], v[6:7]
	s_cbranch_execz .LBB6_20
; %bb.15:
	v_sub_nc_u64_e64 v[12:13], v[6:7], s[10:11]
                                        ; implicit-def: $vgpr8_vgpr9
	s_mov_b32 s0, exec_lo
	s_delay_alu instid0(VALU_DEP_1) | instskip(NEXT) | instid1(VALU_DEP_1)
	v_dual_mov_b32 v10, 0 :: v_dual_bitop2_b32 v11, s13, v13 bitop3:0x54
	v_cmpx_ne_u64_e32 0, v[10:11]
	s_xor_b32 s44, exec_lo, s0
	s_cbranch_execz .LBB6_17
; %bb.16:
	s_ashr_i32 s14, s13, 31
	s_mov_b32 s53, 0
	s_mov_b32 s15, s14
	v_dual_mov_b32 v17, v10 :: v_dual_ashrrev_i32 v8, 31, v13
	s_add_nc_u64 s[42:43], s[12:13], s[14:15]
	v_mov_b32_e32 v19, v10
	s_xor_b64 s[42:43], s[42:43], s[14:15]
	s_delay_alu instid0(VALU_DEP_2)
	v_mov_b32_e32 v9, v8
	s_cvt_f32_u32 s0, s42
	s_cvt_f32_u32 s15, s43
	s_sub_nc_u64 s[48:49], 0, s[42:43]
	v_mov_b32_e32 v25, v10
	v_add_nc_u64_e32 v[12:13], v[12:13], v[8:9]
	s_fmamk_f32 s0, s15, 0x4f800000, s0
	v_mov_b32_e32 v11, v10
	s_delay_alu instid0(SALU_CYCLE_2) | instskip(NEXT) | instid1(VALU_DEP_2)
	v_s_rcp_f32 s0, s0
	v_xor_b32_e32 v16, v12, v8
	s_delay_alu instid0(VALU_DEP_3) | instskip(SKIP_1) | instid1(TRANS32_DEP_1)
	v_xor_b32_e32 v18, v13, v8
	v_xor_b32_e32 v8, s14, v8
	s_mul_f32 s0, s0, 0x5f7ffffc
	s_delay_alu instid0(SALU_CYCLE_3) | instskip(NEXT) | instid1(SALU_CYCLE_3)
	s_mul_f32 s15, s0, 0x2f800000
	s_trunc_f32 s15, s15
	s_delay_alu instid0(SALU_CYCLE_3) | instskip(SKIP_1) | instid1(SALU_CYCLE_2)
	s_fmamk_f32 s0, s15, 0xcf800000, s0
	s_cvt_u32_f32 s47, s15
	s_cvt_u32_f32 s46, s0
	s_delay_alu instid0(SALU_CYCLE_3) | instskip(NEXT) | instid1(SALU_CYCLE_1)
	s_mul_u64 s[50:51], s[48:49], s[46:47]
	s_mul_hi_u32 s55, s46, s51
	s_mul_i32 s54, s46, s51
	s_mul_hi_u32 s52, s46, s50
	s_mul_i32 s15, s47, s50
	s_add_nc_u64 s[54:55], s[52:53], s[54:55]
	s_mul_hi_u32 s0, s47, s50
	s_mul_hi_u32 s45, s47, s51
	s_add_co_u32 s15, s54, s15
	s_add_co_ci_u32 s52, s55, s0
	s_mul_i32 s50, s47, s51
	s_add_co_ci_u32 s51, s45, 0
	s_delay_alu instid0(SALU_CYCLE_1) | instskip(NEXT) | instid1(SALU_CYCLE_1)
	s_add_nc_u64 s[50:51], s[52:53], s[50:51]
	s_add_co_u32 s46, s46, s50
	s_cselect_b32 s0, -1, 0
	s_delay_alu instid0(SALU_CYCLE_1) | instskip(SKIP_1) | instid1(SALU_CYCLE_1)
	s_cmp_lg_u32 s0, 0
	s_add_co_ci_u32 s47, s47, s51
	s_mul_u64 s[48:49], s[48:49], s[46:47]
	s_delay_alu instid0(SALU_CYCLE_1)
	s_mul_hi_u32 s51, s46, s49
	s_mul_i32 s50, s46, s49
	s_mul_hi_u32 s52, s46, s48
	s_mul_i32 s15, s47, s48
	s_add_nc_u64 s[50:51], s[52:53], s[50:51]
	s_mul_hi_u32 s0, s47, s48
	s_mul_hi_u32 s45, s47, s49
	s_add_co_u32 s15, s50, s15
	s_add_co_ci_u32 s52, s51, s0
	s_mul_i32 s48, s47, s49
	s_add_co_ci_u32 s49, s45, 0
	s_delay_alu instid0(SALU_CYCLE_1) | instskip(NEXT) | instid1(SALU_CYCLE_1)
	s_add_nc_u64 s[48:49], s[52:53], s[48:49]
	s_add_co_u32 s0, s46, s48
	s_cselect_b32 s15, -1, 0
	v_mul_hi_u32 v24, v16, s0
	s_cmp_lg_u32 s15, 0
	s_add_co_ci_u32 s52, s47, s49
	s_mov_b64 s[46:47], 0xffffffff
	v_mul_u64_e32 v[20:21], s[52:53], v[16:17]
	s_and_b64 s[46:47], s[0:1], s[46:47]
	v_mul_u64_e32 v[22:23], s[52:53], v[18:19]
	v_mul_u64_e32 v[12:13], s[46:47], v[18:19]
	s_delay_alu instid0(VALU_DEP_3) | instskip(NEXT) | instid1(VALU_DEP_1)
	v_add_nc_u64_e32 v[20:21], v[24:25], v[20:21]
	v_add_co_u32 v1, vcc_lo, v20, v12
	s_delay_alu instid0(VALU_DEP_2) | instskip(SKIP_1) | instid1(VALU_DEP_1)
	v_add_co_ci_u32_e32 v10, vcc_lo, v21, v13, vcc_lo
	v_add_co_ci_u32_e32 v23, vcc_lo, 0, v23, vcc_lo
	v_add_nc_u64_e32 v[10:11], v[10:11], v[22:23]
	s_delay_alu instid0(VALU_DEP_1) | instskip(NEXT) | instid1(VALU_DEP_1)
	v_mul_u64_e32 v[12:13], s[42:43], v[10:11]
	v_sub_nc_u32_e32 v1, v18, v13
	s_delay_alu instid0(VALU_DEP_2) | instskip(NEXT) | instid1(VALU_DEP_1)
	v_sub_co_u32 v3, vcc_lo, v16, v12
	v_sub_co_ci_u32_e64 v9, null, v18, v13, vcc_lo
	s_delay_alu instid0(VALU_DEP_3) | instskip(NEXT) | instid1(VALU_DEP_3)
	v_subrev_co_ci_u32_e64 v1, null, s43, v1, vcc_lo
	v_sub_co_u32 v5, s0, v3, s42
	v_add_nc_u64_e32 v[16:17], 1, v[10:11]
	s_delay_alu instid0(VALU_DEP_3) | instskip(NEXT) | instid1(VALU_DEP_3)
	v_subrev_co_ci_u32_e64 v1, null, 0, v1, s0
	v_cmp_le_u32_e32 vcc_lo, s42, v5
	v_cndmask_b32_e64 v5, 0, -1, vcc_lo
	s_delay_alu instid0(VALU_DEP_3)
	v_cmp_le_u32_e32 vcc_lo, s43, v1
	v_cndmask_b32_e64 v12, 0, -1, vcc_lo
	v_cmp_le_u32_e32 vcc_lo, s42, v3
	v_cndmask_b32_e64 v3, 0, -1, vcc_lo
	;; [unrolled: 2-line block ×3, first 2 shown]
	v_cmp_eq_u32_e32 vcc_lo, s43, v1
	v_cndmask_b32_e32 v1, v12, v5, vcc_lo
	v_cmp_eq_u32_e32 vcc_lo, s43, v9
	v_add_nc_u64_e32 v[12:13], 2, v[10:11]
	v_cndmask_b32_e32 v3, v15, v3, vcc_lo
	s_delay_alu instid0(VALU_DEP_4) | instskip(NEXT) | instid1(VALU_DEP_2)
	v_cmp_ne_u32_e32 vcc_lo, 0, v1
	v_cmp_ne_u32_e64 s0, 0, v3
	s_delay_alu instid0(VALU_DEP_4) | instskip(NEXT) | instid1(VALU_DEP_1)
	v_dual_cndmask_b32 v1, v17, v13, vcc_lo :: v_dual_cndmask_b32 v3, v16, v12, vcc_lo
                                        ; implicit-def: $vgpr12_vgpr13
	v_dual_cndmask_b32 v1, v11, v1, s0 :: v_dual_cndmask_b32 v3, v10, v3, s0
	s_delay_alu instid0(VALU_DEP_1) | instskip(NEXT) | instid1(VALU_DEP_2)
	v_dual_mov_b32 v9, v8 :: v_dual_bitop2_b32 v11, v1, v8 bitop3:0x14
	v_xor_b32_e32 v10, v3, v8
	s_delay_alu instid0(VALU_DEP_1)
	v_sub_nc_u64_e32 v[8:9], v[10:11], v[8:9]
.LBB6_17:
	s_and_not1_saveexec_b32 s0, s44
	s_cbranch_execz .LBB6_19
; %bb.18:
	v_cvt_f32_u32_e32 v1, s12
	s_sub_co_i32 s14, 0, s12
	v_mov_b32_e32 v9, 0
	s_delay_alu instid0(VALU_DEP_2) | instskip(SKIP_1) | instid1(TRANS32_DEP_1)
	v_rcp_iflag_f32_e32 v1, v1
	v_nop
	v_mul_f32_e32 v1, 0x4f7ffffe, v1
	s_delay_alu instid0(VALU_DEP_1) | instskip(NEXT) | instid1(VALU_DEP_1)
	v_cvt_u32_f32_e32 v1, v1
	v_mul_lo_u32 v3, s14, v1
	s_delay_alu instid0(VALU_DEP_1) | instskip(NEXT) | instid1(VALU_DEP_1)
	v_mul_hi_u32 v3, v1, v3
	v_add_nc_u32_e32 v1, v1, v3
	s_delay_alu instid0(VALU_DEP_1) | instskip(NEXT) | instid1(VALU_DEP_1)
	v_mul_hi_u32 v1, v12, v1
	v_mul_lo_u32 v3, v1, s12
	s_delay_alu instid0(VALU_DEP_1) | instskip(NEXT) | instid1(VALU_DEP_1)
	v_sub_nc_u32_e32 v3, v12, v3
	v_subrev_nc_u32_e32 v8, s12, v3
	v_cmp_le_u32_e32 vcc_lo, s12, v3
	s_delay_alu instid0(VALU_DEP_2) | instskip(NEXT) | instid1(VALU_DEP_1)
	v_dual_add_nc_u32 v5, 1, v1 :: v_dual_cndmask_b32 v3, v3, v8, vcc_lo
	v_cndmask_b32_e32 v1, v1, v5, vcc_lo
	s_delay_alu instid0(VALU_DEP_2) | instskip(NEXT) | instid1(VALU_DEP_2)
	v_cmp_le_u32_e32 vcc_lo, s12, v3
	v_add_nc_u32_e32 v5, 1, v1
	s_delay_alu instid0(VALU_DEP_1)
	v_cndmask_b32_e32 v8, v1, v5, vcc_lo
.LBB6_19:
	s_or_b32 exec_lo, exec_lo, s0
.LBB6_20:
	s_delay_alu instid0(SALU_CYCLE_1) | instskip(SKIP_2) | instid1(VALU_DEP_1)
	s_or_b32 exec_lo, exec_lo, s1
	v_dual_mov_b32 v10, 0 :: v_dual_bitop2_b32 v11, s13, v7 bitop3:0x54
                                        ; implicit-def: $vgpr12_vgpr13
	s_mov_b32 s0, exec_lo
	v_cmpx_ne_u64_e32 0, v[10:11]
	s_xor_b32 s1, exec_lo, s0
	s_cbranch_execz .LBB6_22
; %bb.21:
	s_ashr_i32 s14, s13, 31
	s_mov_b32 s51, 0
	s_mov_b32 s15, s14
	v_dual_mov_b32 v19, v10 :: v_dual_ashrrev_i32 v12, 31, v7
	s_add_nc_u64 s[42:43], s[12:13], s[14:15]
	v_mov_b32_e32 v21, v10
	s_xor_b64 s[42:43], s[42:43], s[14:15]
	s_delay_alu instid0(VALU_DEP_2)
	v_mov_b32_e32 v13, v12
	s_cvt_f32_u32 s0, s42
	s_cvt_f32_u32 s15, s43
	s_sub_nc_u64 s[46:47], 0, s[42:43]
	v_mov_b32_e32 v27, v10
	v_add_nc_u64_e32 v[16:17], v[6:7], v[12:13]
	s_fmamk_f32 s0, s15, 0x4f800000, s0
	v_mov_b32_e32 v11, v10
	s_delay_alu instid0(SALU_CYCLE_2) | instskip(NEXT) | instid1(VALU_DEP_2)
	v_s_rcp_f32 s0, s0
	v_xor_b32_e32 v18, v16, v12
	s_delay_alu instid0(VALU_DEP_3) | instskip(SKIP_1) | instid1(TRANS32_DEP_1)
	v_xor_b32_e32 v20, v17, v12
	v_xor_b32_e32 v12, s14, v12
	s_mul_f32 s0, s0, 0x5f7ffffc
	s_delay_alu instid0(SALU_CYCLE_3) | instskip(NEXT) | instid1(SALU_CYCLE_3)
	s_mul_f32 s15, s0, 0x2f800000
	s_trunc_f32 s15, s15
	s_delay_alu instid0(SALU_CYCLE_3) | instskip(SKIP_1) | instid1(SALU_CYCLE_2)
	s_fmamk_f32 s0, s15, 0xcf800000, s0
	s_cvt_u32_f32 s45, s15
	s_cvt_u32_f32 s44, s0
	s_delay_alu instid0(SALU_CYCLE_3) | instskip(NEXT) | instid1(SALU_CYCLE_1)
	s_mul_u64 s[48:49], s[46:47], s[44:45]
	s_mul_hi_u32 s53, s44, s49
	s_mul_i32 s52, s44, s49
	s_mul_hi_u32 s50, s44, s48
	s_mul_i32 s15, s45, s48
	s_add_nc_u64 s[52:53], s[50:51], s[52:53]
	s_mul_hi_u32 s0, s45, s48
	s_mul_hi_u32 s54, s45, s49
	s_add_co_u32 s15, s52, s15
	s_add_co_ci_u32 s50, s53, s0
	s_mul_i32 s48, s45, s49
	s_add_co_ci_u32 s49, s54, 0
	s_delay_alu instid0(SALU_CYCLE_1) | instskip(NEXT) | instid1(SALU_CYCLE_1)
	s_add_nc_u64 s[48:49], s[50:51], s[48:49]
	s_add_co_u32 s44, s44, s48
	s_cselect_b32 s0, -1, 0
	s_delay_alu instid0(SALU_CYCLE_1) | instskip(SKIP_1) | instid1(SALU_CYCLE_1)
	s_cmp_lg_u32 s0, 0
	s_add_co_ci_u32 s45, s45, s49
	s_mul_u64 s[46:47], s[46:47], s[44:45]
	s_delay_alu instid0(SALU_CYCLE_1)
	s_mul_hi_u32 s49, s44, s47
	s_mul_i32 s48, s44, s47
	s_mul_hi_u32 s50, s44, s46
	s_mul_i32 s15, s45, s46
	s_add_nc_u64 s[48:49], s[50:51], s[48:49]
	s_mul_hi_u32 s0, s45, s46
	s_mul_hi_u32 s52, s45, s47
	s_add_co_u32 s15, s48, s15
	s_add_co_ci_u32 s50, s49, s0
	s_mul_i32 s46, s45, s47
	s_add_co_ci_u32 s47, s52, 0
	s_delay_alu instid0(SALU_CYCLE_1) | instskip(NEXT) | instid1(SALU_CYCLE_1)
	s_add_nc_u64 s[46:47], s[50:51], s[46:47]
	s_add_co_u32 s0, s44, s46
	s_cselect_b32 s15, -1, 0
	v_mul_hi_u32 v26, v18, s0
	s_cmp_lg_u32 s15, 0
	s_add_co_ci_u32 s50, s45, s47
	s_mov_b64 s[44:45], 0xffffffff
	v_mul_u64_e32 v[22:23], s[50:51], v[18:19]
	s_and_b64 s[44:45], s[0:1], s[44:45]
	v_mul_u64_e32 v[24:25], s[50:51], v[20:21]
	v_mul_u64_e32 v[16:17], s[44:45], v[20:21]
	s_delay_alu instid0(VALU_DEP_3) | instskip(NEXT) | instid1(VALU_DEP_1)
	v_add_nc_u64_e32 v[22:23], v[26:27], v[22:23]
	v_add_co_u32 v1, vcc_lo, v22, v16
	s_delay_alu instid0(VALU_DEP_2) | instskip(SKIP_1) | instid1(VALU_DEP_1)
	v_add_co_ci_u32_e32 v10, vcc_lo, v23, v17, vcc_lo
	v_add_co_ci_u32_e32 v25, vcc_lo, 0, v25, vcc_lo
	v_add_nc_u64_e32 v[10:11], v[10:11], v[24:25]
	s_delay_alu instid0(VALU_DEP_1) | instskip(NEXT) | instid1(VALU_DEP_1)
	v_mul_u64_e32 v[16:17], s[42:43], v[10:11]
	v_sub_nc_u32_e32 v1, v20, v17
	s_delay_alu instid0(VALU_DEP_2) | instskip(NEXT) | instid1(VALU_DEP_1)
	v_sub_co_u32 v3, vcc_lo, v18, v16
	v_sub_co_ci_u32_e64 v13, null, v20, v17, vcc_lo
	s_delay_alu instid0(VALU_DEP_3) | instskip(NEXT) | instid1(VALU_DEP_3)
	v_subrev_co_ci_u32_e64 v1, null, s43, v1, vcc_lo
	v_sub_co_u32 v5, s0, v3, s42
	v_add_nc_u64_e32 v[16:17], 2, v[10:11]
	s_delay_alu instid0(VALU_DEP_3) | instskip(NEXT) | instid1(VALU_DEP_3)
	v_subrev_co_ci_u32_e64 v1, null, 0, v1, s0
	v_cmp_le_u32_e32 vcc_lo, s42, v5
	v_add_nc_u64_e32 v[18:19], 1, v[10:11]
	v_cndmask_b32_e64 v5, 0, -1, vcc_lo
	s_delay_alu instid0(VALU_DEP_4)
	v_cmp_le_u32_e32 vcc_lo, s43, v1
	v_cndmask_b32_e64 v15, 0, -1, vcc_lo
	v_cmp_le_u32_e32 vcc_lo, s42, v3
	v_cndmask_b32_e64 v3, 0, -1, vcc_lo
	v_cmp_le_u32_e32 vcc_lo, s43, v13
	v_cndmask_b32_e64 v20, 0, -1, vcc_lo
	v_cmp_eq_u32_e32 vcc_lo, s43, v1
	v_cndmask_b32_e32 v1, v15, v5, vcc_lo
	v_cmp_eq_u32_e32 vcc_lo, s43, v13
	s_delay_alu instid0(VALU_DEP_4) | instskip(NEXT) | instid1(VALU_DEP_3)
	v_cndmask_b32_e32 v3, v20, v3, vcc_lo
	v_cmp_ne_u32_e32 vcc_lo, 0, v1
	s_delay_alu instid0(VALU_DEP_2) | instskip(SKIP_1) | instid1(VALU_DEP_1)
	v_cmp_ne_u32_e64 s0, 0, v3
	v_dual_cndmask_b32 v1, v19, v17, vcc_lo :: v_dual_cndmask_b32 v3, v18, v16, vcc_lo
	v_dual_cndmask_b32 v1, v11, v1, s0 :: v_dual_cndmask_b32 v3, v10, v3, s0
	s_delay_alu instid0(VALU_DEP_1) | instskip(NEXT) | instid1(VALU_DEP_2)
	v_dual_mov_b32 v13, v12 :: v_dual_bitop2_b32 v11, v1, v12 bitop3:0x14
	v_xor_b32_e32 v10, v3, v12
	s_delay_alu instid0(VALU_DEP_1)
	v_sub_nc_u64_e32 v[12:13], v[10:11], v[12:13]
.LBB6_22:
	s_and_not1_saveexec_b32 s0, s1
	s_cbranch_execz .LBB6_24
; %bb.23:
	v_cvt_f32_u32_e32 v1, s12
	s_sub_co_i32 s1, 0, s12
	v_mov_b32_e32 v13, 0
	s_delay_alu instid0(VALU_DEP_2) | instskip(SKIP_1) | instid1(TRANS32_DEP_1)
	v_rcp_iflag_f32_e32 v1, v1
	v_nop
	v_mul_f32_e32 v1, 0x4f7ffffe, v1
	s_delay_alu instid0(VALU_DEP_1) | instskip(NEXT) | instid1(VALU_DEP_1)
	v_cvt_u32_f32_e32 v1, v1
	v_mul_lo_u32 v3, s1, v1
	s_delay_alu instid0(VALU_DEP_1) | instskip(NEXT) | instid1(VALU_DEP_1)
	v_mul_hi_u32 v3, v1, v3
	v_add_nc_u32_e32 v1, v1, v3
	s_delay_alu instid0(VALU_DEP_1) | instskip(NEXT) | instid1(VALU_DEP_1)
	v_mul_hi_u32 v1, v6, v1
	v_mul_lo_u32 v3, v1, s12
	s_delay_alu instid0(VALU_DEP_1) | instskip(NEXT) | instid1(VALU_DEP_1)
	v_sub_nc_u32_e32 v3, v6, v3
	v_subrev_nc_u32_e32 v10, s12, v3
	v_cmp_le_u32_e32 vcc_lo, s12, v3
	s_delay_alu instid0(VALU_DEP_2) | instskip(NEXT) | instid1(VALU_DEP_1)
	v_dual_add_nc_u32 v5, 1, v1 :: v_dual_cndmask_b32 v3, v3, v10, vcc_lo
	v_cndmask_b32_e32 v1, v1, v5, vcc_lo
	s_delay_alu instid0(VALU_DEP_2) | instskip(NEXT) | instid1(VALU_DEP_2)
	v_cmp_le_u32_e32 vcc_lo, s12, v3
	v_add_nc_u32_e32 v5, 1, v1
	s_delay_alu instid0(VALU_DEP_1)
	v_cndmask_b32_e32 v12, v1, v5, vcc_lo
.LBB6_24:
	s_or_b32 exec_lo, exec_lo, s0
	v_mul_u64_e32 v[16:17], s[12:13], v[8:9]
	s_delay_alu instid0(VALU_DEP_2) | instskip(SKIP_2) | instid1(VALU_DEP_2)
	v_min_i64 v[10:11], v[12:13], s[2:3]
	s_mov_b32 s14, 0
	s_mov_b32 s15, exec_lo
	v_add_nc_u64_e32 v[12:13], s[10:11], v[16:17]
	v_cmp_gt_i64_e32 vcc_lo, v[16:17], v[6:7]
	s_delay_alu instid0(VALU_DEP_2) | instskip(SKIP_2) | instid1(SALU_CYCLE_1)
	v_cmp_ge_i64_e64 s0, v[6:7], v[12:13]
	v_mov_b32_e32 v13, s14
	s_or_b32 s0, vcc_lo, s0
	v_cndmask_b32_e64 v12, 0, 1, s0
	s_delay_alu instid0(VALU_DEP_1) | instskip(NEXT) | instid1(VALU_DEP_1)
	v_add_nc_u64_e32 v[8:9], v[8:9], v[12:13]
	v_cmpx_le_i64_e64 v[8:9], v[10:11]
	s_cbranch_execz .LBB6_27
; %bb.25:
	global_load_b32 v1, v2, s[4:5]
	v_mul_u64_e32 v[12:13], s[12:13], v[8:9]
	v_mov_b32_e32 v3, 0
	s_mul_u64 s[0:1], s[12:13], s[18:19]
	s_lshl_b64 s[42:43], s[16:17], 2
	s_lshl_b64 s[0:1], s[0:1], 2
	s_delay_alu instid0(VALU_DEP_1) | instskip(SKIP_3) | instid1(VALU_DEP_4)
	v_mov_b32_e32 v5, v3
	s_wait_xcnt 0x0
	v_add_nc_u64_e32 v[2:3], s[4:5], v[2:3]
	s_sub_nc_u64 s[0:1], s[42:43], s[0:1]
	v_sub_nc_u64_e32 v[6:7], v[6:7], v[12:13]
	v_mul_u64_e32 v[12:13], s[16:17], v[8:9]
	s_delay_alu instid0(VALU_DEP_2) | instskip(NEXT) | instid1(VALU_DEP_2)
	v_mul_u64_e32 v[6:7], s[18:19], v[6:7]
	v_lshlrev_b64_e32 v[12:13], 2, v[12:13]
	s_delay_alu instid0(VALU_DEP_1) | instskip(NEXT) | instid1(VALU_DEP_1)
	v_lshl_add_u64 v[6:7], v[6:7], 2, v[12:13]
	v_add_nc_u64_e32 v[6:7], v[6:7], v[4:5]
	v_add_nc_u64_e32 v[4:5], -1, v[8:9]
	s_delay_alu instid0(VALU_DEP_2)
	v_add_nc_u64_e32 v[6:7], s[6:7], v[6:7]
.LBB6_26:                               ; =>This Inner Loop Header: Depth=1
	global_load_b32 v8, v[6:7], off
	v_add_nc_u64_e32 v[4:5], 1, v[4:5]
	s_wait_xcnt 0x0
	v_add_nc_u64_e32 v[6:7], s[0:1], v[6:7]
	s_delay_alu instid0(VALU_DEP_2)
	v_cmp_ge_i64_e32 vcc_lo, v[4:5], v[10:11]
	s_or_b32 s14, vcc_lo, s14
	s_wait_loadcnt 0x0
	v_add_f32_e32 v1, v1, v8
	global_store_b32 v[2:3], v1, off
	s_wait_xcnt 0x0
	s_and_not1_b32 exec_lo, exec_lo, s14
	s_cbranch_execnz .LBB6_26
.LBB6_27:
	s_or_b32 exec_lo, exec_lo, s15
	v_add_nc_u32_e32 v0, 0x100, v0
	s_or_b32 exec_lo, exec_lo, s29
	s_delay_alu instid0(SALU_CYCLE_1) | instskip(NEXT) | instid1(VALU_DEP_1)
	s_mov_b32 s29, exec_lo
	v_cmpx_gt_i32_e64 s31, v0
	s_cbranch_execz .LBB6_2
.LBB6_28:
	v_cmp_ne_u32_e32 vcc_lo, 1, v14
	s_cbranch_vccnz .LBB6_35
; %bb.29:
	v_dual_mov_b32 v3, 0 :: v_dual_mov_b32 v4, 0
	v_mov_b32_e32 v2, 0
	s_and_not1_b32 vcc_lo, exec_lo, s33
	s_cbranch_vccnz .LBB6_34
; %bb.30:
	v_dual_mov_b32 v2, 0 :: v_dual_mov_b32 v1, v0
	v_dual_mov_b32 v4, 0 :: v_dual_mov_b32 v3, 0
	s_add_co_i32 s14, s22, 1
	s_mov_b64 s[0:1], 0xffffffffffffffe8
	s_and_b32 s14, s14, 30
	s_add_nc_u64 s[0:1], s[40:41], s[0:1]
.LBB6_31:                               ; =>This Inner Loop Header: Depth=1
	s_clause 0x1
	s_load_b128 s[44:47], s[0:1], 0x1c
	s_load_b64 s[42:43], s[0:1], 0x2c
	s_add_co_i32 s14, s14, -2
	s_delay_alu instid0(SALU_CYCLE_1) | instskip(SKIP_2) | instid1(VALU_DEP_1)
	s_cmp_eq_u32 s14, 0
	s_wait_kmcnt 0x0
	v_mul_hi_u32 v5, s45, v1
	v_add_nc_u32_e32 v5, v1, v5
	s_delay_alu instid0(VALU_DEP_1) | instskip(NEXT) | instid1(VALU_DEP_1)
	v_lshrrev_b32_e32 v5, s46, v5
	v_mul_hi_u32 v6, s42, v5
	v_mul_lo_u32 v7, v5, s44
	s_clause 0x1
	s_load_b128 s[48:51], s[0:1], 0xdc
	s_load_b64 s[44:45], s[0:1], 0xec
	s_wait_xcnt 0x0
	s_add_nc_u64 s[0:1], s[0:1], 24
	s_delay_alu instid0(VALU_DEP_2) | instskip(NEXT) | instid1(VALU_DEP_1)
	v_add_nc_u32_e32 v6, v5, v6
	v_dual_sub_nc_u32 v7, v1, v7 :: v_dual_lshrrev_b32 v1, s43, v6
	s_wait_kmcnt 0x0
	s_delay_alu instid0(VALU_DEP_1) | instskip(NEXT) | instid1(VALU_DEP_2)
	v_mad_u32 v2, v7, s48, v2
	v_mul_lo_u32 v6, v1, s47
	v_mad_u32 v3, v7, s50, v3
	v_mad_u32 v4, v7, s49, v4
	s_delay_alu instid0(VALU_DEP_3) | instskip(NEXT) | instid1(VALU_DEP_1)
	v_sub_nc_u32_e32 v5, v5, v6
	v_mad_u32 v2, v5, s51, v2
	s_delay_alu instid0(VALU_DEP_4) | instskip(NEXT) | instid1(VALU_DEP_4)
	v_mad_u32 v3, v5, s45, v3
	v_mad_u32 v4, v5, s44, v4
	s_cbranch_scc0 .LBB6_31
; %bb.32:
	s_bitcmp1_b32 s22, 0
	s_cselect_b32 s14, -1, 0
	s_delay_alu instid0(SALU_CYCLE_1)
	s_and_b32 vcc_lo, exec_lo, s14
	s_cbranch_vccnz .LBB6_34
; %bb.33:
	s_clause 0x1
	s_load_b96 s[44:46], s[0:1], 0x1c
	s_load_b96 s[48:50], s[0:1], 0xdc
	s_wait_kmcnt 0x0
	v_mul_hi_u32 v5, s45, v1
	s_delay_alu instid0(VALU_DEP_1) | instskip(NEXT) | instid1(VALU_DEP_1)
	v_add_nc_u32_e32 v5, v1, v5
	v_lshrrev_b32_e32 v5, s46, v5
	s_delay_alu instid0(VALU_DEP_1) | instskip(NEXT) | instid1(VALU_DEP_1)
	v_mul_lo_u32 v5, v5, s44
	v_sub_nc_u32_e32 v1, v1, v5
	s_delay_alu instid0(VALU_DEP_1)
	v_mad_u32 v2, v1, s48, v2
	v_mad_u32 v4, v1, s49, v4
	;; [unrolled: 1-line block ×3, first 2 shown]
.LBB6_34:
	s_cbranch_execz .LBB6_36
	s_branch .LBB6_38
.LBB6_35:
                                        ; implicit-def: $vgpr3
                                        ; implicit-def: $vgpr4
                                        ; implicit-def: $vgpr2
.LBB6_36:
	v_mov_b32_e32 v1, 0
	s_and_not1_b32 vcc_lo, exec_lo, s20
	s_delay_alu instid0(VALU_DEP_1) | instskip(NEXT) | instid1(VALU_DEP_1)
	v_mul_u64_e32 v[2:3], s[36:37], v[0:1]
	v_add_nc_u32_e32 v2, v0, v3
	s_delay_alu instid0(VALU_DEP_1) | instskip(NEXT) | instid1(VALU_DEP_1)
	v_lshrrev_b32_e32 v6, s23, v2
	v_mul_lo_u32 v2, v6, s21
	s_delay_alu instid0(VALU_DEP_1) | instskip(NEXT) | instid1(VALU_DEP_1)
	v_sub_nc_u32_e32 v4, v0, v2
	v_mul_lo_u32 v2, v4, s24
	v_mul_lo_u32 v3, v4, s26
	;; [unrolled: 1-line block ×3, first 2 shown]
	s_cbranch_vccnz .LBB6_38
; %bb.37:
	v_mov_b32_e32 v7, v1
	s_delay_alu instid0(VALU_DEP_1) | instskip(NEXT) | instid1(VALU_DEP_1)
	v_mul_u64_e32 v[8:9], s[38:39], v[6:7]
	v_add_nc_u32_e32 v1, v6, v9
	s_delay_alu instid0(VALU_DEP_1) | instskip(NEXT) | instid1(VALU_DEP_1)
	v_lshrrev_b32_e32 v1, s30, v1
	v_mul_lo_u32 v1, v1, s28
	s_delay_alu instid0(VALU_DEP_1) | instskip(NEXT) | instid1(VALU_DEP_1)
	v_sub_nc_u32_e32 v1, v6, v1
	v_mad_u32 v2, v1, s27, v2
	v_mad_u32 v4, v1, s34, v4
	v_mad_u32 v3, v1, s35, v3
.LBB6_38:
	global_load_b64 v[6:7], v3, s[8:9]
	v_mov_b64_e32 v[8:9], 0
	s_mov_b32 s1, exec_lo
	s_wait_loadcnt 0x0
	v_cmpx_lt_i64_e64 s[10:11], v[6:7]
	s_cbranch_execz .LBB6_44
; %bb.39:
	v_sub_nc_u64_e64 v[12:13], v[6:7], s[10:11]
                                        ; implicit-def: $vgpr8_vgpr9
	s_mov_b32 s0, exec_lo
	s_delay_alu instid0(VALU_DEP_1) | instskip(NEXT) | instid1(VALU_DEP_1)
	v_dual_mov_b32 v10, 0 :: v_dual_bitop2_b32 v11, s13, v13 bitop3:0x54
	v_cmpx_ne_u64_e32 0, v[10:11]
	s_xor_b32 s44, exec_lo, s0
	s_cbranch_execz .LBB6_41
; %bb.40:
	s_ashr_i32 s14, s13, 31
	s_mov_b32 s53, 0
	s_mov_b32 s15, s14
	v_dual_mov_b32 v17, v10 :: v_dual_ashrrev_i32 v8, 31, v13
	s_add_nc_u64 s[42:43], s[12:13], s[14:15]
	v_mov_b32_e32 v19, v10
	s_xor_b64 s[42:43], s[42:43], s[14:15]
	s_delay_alu instid0(VALU_DEP_2)
	v_mov_b32_e32 v9, v8
	s_cvt_f32_u32 s0, s42
	s_cvt_f32_u32 s15, s43
	s_sub_nc_u64 s[48:49], 0, s[42:43]
	v_mov_b32_e32 v25, v10
	v_add_nc_u64_e32 v[12:13], v[12:13], v[8:9]
	s_fmamk_f32 s0, s15, 0x4f800000, s0
	v_mov_b32_e32 v11, v10
	s_delay_alu instid0(SALU_CYCLE_2) | instskip(NEXT) | instid1(VALU_DEP_2)
	v_s_rcp_f32 s0, s0
	v_xor_b32_e32 v16, v12, v8
	s_delay_alu instid0(VALU_DEP_3) | instskip(SKIP_1) | instid1(TRANS32_DEP_1)
	v_xor_b32_e32 v18, v13, v8
	v_xor_b32_e32 v8, s14, v8
	s_mul_f32 s0, s0, 0x5f7ffffc
	s_delay_alu instid0(SALU_CYCLE_3) | instskip(NEXT) | instid1(SALU_CYCLE_3)
	s_mul_f32 s15, s0, 0x2f800000
	s_trunc_f32 s15, s15
	s_delay_alu instid0(SALU_CYCLE_3) | instskip(SKIP_1) | instid1(SALU_CYCLE_2)
	s_fmamk_f32 s0, s15, 0xcf800000, s0
	s_cvt_u32_f32 s47, s15
	s_cvt_u32_f32 s46, s0
	s_delay_alu instid0(SALU_CYCLE_3) | instskip(NEXT) | instid1(SALU_CYCLE_1)
	s_mul_u64 s[50:51], s[48:49], s[46:47]
	s_mul_hi_u32 s55, s46, s51
	s_mul_i32 s54, s46, s51
	s_mul_hi_u32 s52, s46, s50
	s_mul_i32 s15, s47, s50
	s_add_nc_u64 s[54:55], s[52:53], s[54:55]
	s_mul_hi_u32 s0, s47, s50
	s_mul_hi_u32 s45, s47, s51
	s_add_co_u32 s15, s54, s15
	s_add_co_ci_u32 s52, s55, s0
	s_mul_i32 s50, s47, s51
	s_add_co_ci_u32 s51, s45, 0
	s_delay_alu instid0(SALU_CYCLE_1) | instskip(NEXT) | instid1(SALU_CYCLE_1)
	s_add_nc_u64 s[50:51], s[52:53], s[50:51]
	s_add_co_u32 s46, s46, s50
	s_cselect_b32 s0, -1, 0
	s_delay_alu instid0(SALU_CYCLE_1) | instskip(SKIP_1) | instid1(SALU_CYCLE_1)
	s_cmp_lg_u32 s0, 0
	s_add_co_ci_u32 s47, s47, s51
	s_mul_u64 s[48:49], s[48:49], s[46:47]
	s_delay_alu instid0(SALU_CYCLE_1)
	s_mul_hi_u32 s51, s46, s49
	s_mul_i32 s50, s46, s49
	s_mul_hi_u32 s52, s46, s48
	s_mul_i32 s15, s47, s48
	s_add_nc_u64 s[50:51], s[52:53], s[50:51]
	s_mul_hi_u32 s0, s47, s48
	s_mul_hi_u32 s45, s47, s49
	s_add_co_u32 s15, s50, s15
	s_add_co_ci_u32 s52, s51, s0
	s_mul_i32 s48, s47, s49
	s_add_co_ci_u32 s49, s45, 0
	s_delay_alu instid0(SALU_CYCLE_1) | instskip(NEXT) | instid1(SALU_CYCLE_1)
	s_add_nc_u64 s[48:49], s[52:53], s[48:49]
	s_add_co_u32 s0, s46, s48
	s_cselect_b32 s15, -1, 0
	v_mul_hi_u32 v24, v16, s0
	s_cmp_lg_u32 s15, 0
	s_add_co_ci_u32 s52, s47, s49
	s_mov_b64 s[46:47], 0xffffffff
	v_mul_u64_e32 v[20:21], s[52:53], v[16:17]
	s_and_b64 s[46:47], s[0:1], s[46:47]
	v_mul_u64_e32 v[22:23], s[52:53], v[18:19]
	v_mul_u64_e32 v[12:13], s[46:47], v[18:19]
	s_delay_alu instid0(VALU_DEP_3) | instskip(NEXT) | instid1(VALU_DEP_1)
	v_add_nc_u64_e32 v[20:21], v[24:25], v[20:21]
	v_add_co_u32 v1, vcc_lo, v20, v12
	s_delay_alu instid0(VALU_DEP_2) | instskip(SKIP_1) | instid1(VALU_DEP_1)
	v_add_co_ci_u32_e32 v10, vcc_lo, v21, v13, vcc_lo
	v_add_co_ci_u32_e32 v23, vcc_lo, 0, v23, vcc_lo
	v_add_nc_u64_e32 v[10:11], v[10:11], v[22:23]
	s_delay_alu instid0(VALU_DEP_1) | instskip(NEXT) | instid1(VALU_DEP_1)
	v_mul_u64_e32 v[12:13], s[42:43], v[10:11]
	v_sub_nc_u32_e32 v1, v18, v13
	s_delay_alu instid0(VALU_DEP_2) | instskip(NEXT) | instid1(VALU_DEP_1)
	v_sub_co_u32 v3, vcc_lo, v16, v12
	v_sub_co_ci_u32_e64 v9, null, v18, v13, vcc_lo
	s_delay_alu instid0(VALU_DEP_3) | instskip(NEXT) | instid1(VALU_DEP_3)
	v_subrev_co_ci_u32_e64 v1, null, s43, v1, vcc_lo
	v_sub_co_u32 v5, s0, v3, s42
	v_add_nc_u64_e32 v[16:17], 1, v[10:11]
	s_delay_alu instid0(VALU_DEP_3) | instskip(NEXT) | instid1(VALU_DEP_3)
	v_subrev_co_ci_u32_e64 v1, null, 0, v1, s0
	v_cmp_le_u32_e32 vcc_lo, s42, v5
	v_cndmask_b32_e64 v5, 0, -1, vcc_lo
	s_delay_alu instid0(VALU_DEP_3)
	v_cmp_le_u32_e32 vcc_lo, s43, v1
	v_cndmask_b32_e64 v12, 0, -1, vcc_lo
	v_cmp_le_u32_e32 vcc_lo, s42, v3
	v_cndmask_b32_e64 v3, 0, -1, vcc_lo
	;; [unrolled: 2-line block ×3, first 2 shown]
	v_cmp_eq_u32_e32 vcc_lo, s43, v1
	v_cndmask_b32_e32 v1, v12, v5, vcc_lo
	v_cmp_eq_u32_e32 vcc_lo, s43, v9
	v_add_nc_u64_e32 v[12:13], 2, v[10:11]
	v_cndmask_b32_e32 v3, v15, v3, vcc_lo
	s_delay_alu instid0(VALU_DEP_4) | instskip(NEXT) | instid1(VALU_DEP_2)
	v_cmp_ne_u32_e32 vcc_lo, 0, v1
	v_cmp_ne_u32_e64 s0, 0, v3
	s_delay_alu instid0(VALU_DEP_4) | instskip(NEXT) | instid1(VALU_DEP_1)
	v_dual_cndmask_b32 v1, v17, v13, vcc_lo :: v_dual_cndmask_b32 v3, v16, v12, vcc_lo
                                        ; implicit-def: $vgpr12_vgpr13
	v_dual_cndmask_b32 v1, v11, v1, s0 :: v_dual_cndmask_b32 v3, v10, v3, s0
	s_delay_alu instid0(VALU_DEP_1) | instskip(NEXT) | instid1(VALU_DEP_2)
	v_dual_mov_b32 v9, v8 :: v_dual_bitop2_b32 v11, v1, v8 bitop3:0x14
	v_xor_b32_e32 v10, v3, v8
	s_delay_alu instid0(VALU_DEP_1)
	v_sub_nc_u64_e32 v[8:9], v[10:11], v[8:9]
.LBB6_41:
	s_and_not1_saveexec_b32 s0, s44
	s_cbranch_execz .LBB6_43
; %bb.42:
	v_cvt_f32_u32_e32 v1, s12
	s_sub_co_i32 s14, 0, s12
	v_mov_b32_e32 v9, 0
	s_delay_alu instid0(VALU_DEP_2) | instskip(SKIP_1) | instid1(TRANS32_DEP_1)
	v_rcp_iflag_f32_e32 v1, v1
	v_nop
	v_mul_f32_e32 v1, 0x4f7ffffe, v1
	s_delay_alu instid0(VALU_DEP_1) | instskip(NEXT) | instid1(VALU_DEP_1)
	v_cvt_u32_f32_e32 v1, v1
	v_mul_lo_u32 v3, s14, v1
	s_delay_alu instid0(VALU_DEP_1) | instskip(NEXT) | instid1(VALU_DEP_1)
	v_mul_hi_u32 v3, v1, v3
	v_add_nc_u32_e32 v1, v1, v3
	s_delay_alu instid0(VALU_DEP_1) | instskip(NEXT) | instid1(VALU_DEP_1)
	v_mul_hi_u32 v1, v12, v1
	v_mul_lo_u32 v3, v1, s12
	s_delay_alu instid0(VALU_DEP_1) | instskip(NEXT) | instid1(VALU_DEP_1)
	v_sub_nc_u32_e32 v3, v12, v3
	v_subrev_nc_u32_e32 v8, s12, v3
	v_cmp_le_u32_e32 vcc_lo, s12, v3
	s_delay_alu instid0(VALU_DEP_2) | instskip(NEXT) | instid1(VALU_DEP_1)
	v_dual_add_nc_u32 v5, 1, v1 :: v_dual_cndmask_b32 v3, v3, v8, vcc_lo
	v_cndmask_b32_e32 v1, v1, v5, vcc_lo
	s_delay_alu instid0(VALU_DEP_2) | instskip(NEXT) | instid1(VALU_DEP_2)
	v_cmp_le_u32_e32 vcc_lo, s12, v3
	v_add_nc_u32_e32 v5, 1, v1
	s_delay_alu instid0(VALU_DEP_1)
	v_cndmask_b32_e32 v8, v1, v5, vcc_lo
.LBB6_43:
	s_or_b32 exec_lo, exec_lo, s0
.LBB6_44:
	s_delay_alu instid0(SALU_CYCLE_1) | instskip(SKIP_2) | instid1(VALU_DEP_1)
	s_or_b32 exec_lo, exec_lo, s1
	v_dual_mov_b32 v10, 0 :: v_dual_bitop2_b32 v11, s13, v7 bitop3:0x54
                                        ; implicit-def: $vgpr12_vgpr13
	s_mov_b32 s0, exec_lo
	v_cmpx_ne_u64_e32 0, v[10:11]
	s_xor_b32 s1, exec_lo, s0
	s_cbranch_execz .LBB6_46
; %bb.45:
	s_ashr_i32 s14, s13, 31
	s_mov_b32 s51, 0
	s_mov_b32 s15, s14
	v_dual_mov_b32 v19, v10 :: v_dual_ashrrev_i32 v12, 31, v7
	s_add_nc_u64 s[42:43], s[12:13], s[14:15]
	v_mov_b32_e32 v21, v10
	s_xor_b64 s[42:43], s[42:43], s[14:15]
	s_delay_alu instid0(VALU_DEP_2)
	v_mov_b32_e32 v13, v12
	s_cvt_f32_u32 s0, s42
	s_cvt_f32_u32 s15, s43
	s_sub_nc_u64 s[46:47], 0, s[42:43]
	v_mov_b32_e32 v27, v10
	v_add_nc_u64_e32 v[16:17], v[6:7], v[12:13]
	s_fmamk_f32 s0, s15, 0x4f800000, s0
	v_mov_b32_e32 v11, v10
	s_delay_alu instid0(SALU_CYCLE_2) | instskip(NEXT) | instid1(VALU_DEP_2)
	v_s_rcp_f32 s0, s0
	v_xor_b32_e32 v18, v16, v12
	s_delay_alu instid0(VALU_DEP_3) | instskip(SKIP_1) | instid1(TRANS32_DEP_1)
	v_xor_b32_e32 v20, v17, v12
	v_xor_b32_e32 v12, s14, v12
	s_mul_f32 s0, s0, 0x5f7ffffc
	s_delay_alu instid0(SALU_CYCLE_3) | instskip(NEXT) | instid1(SALU_CYCLE_3)
	s_mul_f32 s15, s0, 0x2f800000
	s_trunc_f32 s15, s15
	s_delay_alu instid0(SALU_CYCLE_3) | instskip(SKIP_1) | instid1(SALU_CYCLE_2)
	s_fmamk_f32 s0, s15, 0xcf800000, s0
	s_cvt_u32_f32 s45, s15
	s_cvt_u32_f32 s44, s0
	s_delay_alu instid0(SALU_CYCLE_3) | instskip(NEXT) | instid1(SALU_CYCLE_1)
	s_mul_u64 s[48:49], s[46:47], s[44:45]
	s_mul_hi_u32 s53, s44, s49
	s_mul_i32 s52, s44, s49
	s_mul_hi_u32 s50, s44, s48
	s_mul_i32 s15, s45, s48
	s_add_nc_u64 s[52:53], s[50:51], s[52:53]
	s_mul_hi_u32 s0, s45, s48
	s_mul_hi_u32 s54, s45, s49
	s_add_co_u32 s15, s52, s15
	s_add_co_ci_u32 s50, s53, s0
	s_mul_i32 s48, s45, s49
	s_add_co_ci_u32 s49, s54, 0
	s_delay_alu instid0(SALU_CYCLE_1) | instskip(NEXT) | instid1(SALU_CYCLE_1)
	s_add_nc_u64 s[48:49], s[50:51], s[48:49]
	s_add_co_u32 s44, s44, s48
	s_cselect_b32 s0, -1, 0
	s_delay_alu instid0(SALU_CYCLE_1) | instskip(SKIP_1) | instid1(SALU_CYCLE_1)
	s_cmp_lg_u32 s0, 0
	s_add_co_ci_u32 s45, s45, s49
	s_mul_u64 s[46:47], s[46:47], s[44:45]
	s_delay_alu instid0(SALU_CYCLE_1)
	s_mul_hi_u32 s49, s44, s47
	s_mul_i32 s48, s44, s47
	s_mul_hi_u32 s50, s44, s46
	s_mul_i32 s15, s45, s46
	s_add_nc_u64 s[48:49], s[50:51], s[48:49]
	s_mul_hi_u32 s0, s45, s46
	s_mul_hi_u32 s52, s45, s47
	s_add_co_u32 s15, s48, s15
	s_add_co_ci_u32 s50, s49, s0
	s_mul_i32 s46, s45, s47
	s_add_co_ci_u32 s47, s52, 0
	s_delay_alu instid0(SALU_CYCLE_1) | instskip(NEXT) | instid1(SALU_CYCLE_1)
	s_add_nc_u64 s[46:47], s[50:51], s[46:47]
	s_add_co_u32 s0, s44, s46
	s_cselect_b32 s15, -1, 0
	v_mul_hi_u32 v26, v18, s0
	s_cmp_lg_u32 s15, 0
	s_add_co_ci_u32 s50, s45, s47
	s_mov_b64 s[44:45], 0xffffffff
	v_mul_u64_e32 v[22:23], s[50:51], v[18:19]
	s_and_b64 s[44:45], s[0:1], s[44:45]
	v_mul_u64_e32 v[24:25], s[50:51], v[20:21]
	v_mul_u64_e32 v[16:17], s[44:45], v[20:21]
	s_delay_alu instid0(VALU_DEP_3) | instskip(NEXT) | instid1(VALU_DEP_1)
	v_add_nc_u64_e32 v[22:23], v[26:27], v[22:23]
	v_add_co_u32 v1, vcc_lo, v22, v16
	s_delay_alu instid0(VALU_DEP_2) | instskip(SKIP_1) | instid1(VALU_DEP_1)
	v_add_co_ci_u32_e32 v10, vcc_lo, v23, v17, vcc_lo
	v_add_co_ci_u32_e32 v25, vcc_lo, 0, v25, vcc_lo
	v_add_nc_u64_e32 v[10:11], v[10:11], v[24:25]
	s_delay_alu instid0(VALU_DEP_1) | instskip(NEXT) | instid1(VALU_DEP_1)
	v_mul_u64_e32 v[16:17], s[42:43], v[10:11]
	v_sub_nc_u32_e32 v1, v20, v17
	s_delay_alu instid0(VALU_DEP_2) | instskip(NEXT) | instid1(VALU_DEP_1)
	v_sub_co_u32 v3, vcc_lo, v18, v16
	v_sub_co_ci_u32_e64 v13, null, v20, v17, vcc_lo
	s_delay_alu instid0(VALU_DEP_3) | instskip(NEXT) | instid1(VALU_DEP_3)
	v_subrev_co_ci_u32_e64 v1, null, s43, v1, vcc_lo
	v_sub_co_u32 v5, s0, v3, s42
	v_add_nc_u64_e32 v[16:17], 2, v[10:11]
	s_delay_alu instid0(VALU_DEP_3) | instskip(NEXT) | instid1(VALU_DEP_3)
	v_subrev_co_ci_u32_e64 v1, null, 0, v1, s0
	v_cmp_le_u32_e32 vcc_lo, s42, v5
	v_add_nc_u64_e32 v[18:19], 1, v[10:11]
	v_cndmask_b32_e64 v5, 0, -1, vcc_lo
	s_delay_alu instid0(VALU_DEP_4)
	v_cmp_le_u32_e32 vcc_lo, s43, v1
	v_cndmask_b32_e64 v15, 0, -1, vcc_lo
	v_cmp_le_u32_e32 vcc_lo, s42, v3
	v_cndmask_b32_e64 v3, 0, -1, vcc_lo
	;; [unrolled: 2-line block ×3, first 2 shown]
	v_cmp_eq_u32_e32 vcc_lo, s43, v1
	v_cndmask_b32_e32 v1, v15, v5, vcc_lo
	v_cmp_eq_u32_e32 vcc_lo, s43, v13
	s_delay_alu instid0(VALU_DEP_4) | instskip(NEXT) | instid1(VALU_DEP_3)
	v_cndmask_b32_e32 v3, v20, v3, vcc_lo
	v_cmp_ne_u32_e32 vcc_lo, 0, v1
	s_delay_alu instid0(VALU_DEP_2) | instskip(SKIP_1) | instid1(VALU_DEP_1)
	v_cmp_ne_u32_e64 s0, 0, v3
	v_dual_cndmask_b32 v1, v19, v17, vcc_lo :: v_dual_cndmask_b32 v3, v18, v16, vcc_lo
	v_dual_cndmask_b32 v1, v11, v1, s0 :: v_dual_cndmask_b32 v3, v10, v3, s0
	s_delay_alu instid0(VALU_DEP_1) | instskip(NEXT) | instid1(VALU_DEP_2)
	v_dual_mov_b32 v13, v12 :: v_dual_bitop2_b32 v11, v1, v12 bitop3:0x14
	v_xor_b32_e32 v10, v3, v12
	s_delay_alu instid0(VALU_DEP_1)
	v_sub_nc_u64_e32 v[12:13], v[10:11], v[12:13]
.LBB6_46:
	s_and_not1_saveexec_b32 s0, s1
	s_cbranch_execz .LBB6_48
; %bb.47:
	v_cvt_f32_u32_e32 v1, s12
	s_sub_co_i32 s1, 0, s12
	v_mov_b32_e32 v13, 0
	s_delay_alu instid0(VALU_DEP_2) | instskip(SKIP_1) | instid1(TRANS32_DEP_1)
	v_rcp_iflag_f32_e32 v1, v1
	v_nop
	v_mul_f32_e32 v1, 0x4f7ffffe, v1
	s_delay_alu instid0(VALU_DEP_1) | instskip(NEXT) | instid1(VALU_DEP_1)
	v_cvt_u32_f32_e32 v1, v1
	v_mul_lo_u32 v3, s1, v1
	s_delay_alu instid0(VALU_DEP_1) | instskip(NEXT) | instid1(VALU_DEP_1)
	v_mul_hi_u32 v3, v1, v3
	v_add_nc_u32_e32 v1, v1, v3
	s_delay_alu instid0(VALU_DEP_1) | instskip(NEXT) | instid1(VALU_DEP_1)
	v_mul_hi_u32 v1, v6, v1
	v_mul_lo_u32 v3, v1, s12
	s_delay_alu instid0(VALU_DEP_1) | instskip(NEXT) | instid1(VALU_DEP_1)
	v_sub_nc_u32_e32 v3, v6, v3
	v_subrev_nc_u32_e32 v10, s12, v3
	v_cmp_le_u32_e32 vcc_lo, s12, v3
	s_delay_alu instid0(VALU_DEP_2) | instskip(NEXT) | instid1(VALU_DEP_1)
	v_dual_add_nc_u32 v5, 1, v1 :: v_dual_cndmask_b32 v3, v3, v10, vcc_lo
	v_cndmask_b32_e32 v1, v1, v5, vcc_lo
	s_delay_alu instid0(VALU_DEP_2) | instskip(NEXT) | instid1(VALU_DEP_2)
	v_cmp_le_u32_e32 vcc_lo, s12, v3
	v_add_nc_u32_e32 v5, 1, v1
	s_delay_alu instid0(VALU_DEP_1)
	v_cndmask_b32_e32 v12, v1, v5, vcc_lo
.LBB6_48:
	s_or_b32 exec_lo, exec_lo, s0
	v_mul_u64_e32 v[16:17], s[12:13], v[8:9]
	s_delay_alu instid0(VALU_DEP_2) | instskip(SKIP_2) | instid1(VALU_DEP_2)
	v_min_i64 v[10:11], v[12:13], s[2:3]
	s_mov_b32 s14, 0
	s_mov_b32 s15, exec_lo
	v_add_nc_u64_e32 v[12:13], s[10:11], v[16:17]
	v_cmp_gt_i64_e32 vcc_lo, v[16:17], v[6:7]
	s_delay_alu instid0(VALU_DEP_2) | instskip(SKIP_2) | instid1(SALU_CYCLE_1)
	v_cmp_ge_i64_e64 s0, v[6:7], v[12:13]
	v_mov_b32_e32 v13, s14
	s_or_b32 s0, vcc_lo, s0
	v_cndmask_b32_e64 v12, 0, 1, s0
	s_delay_alu instid0(VALU_DEP_1) | instskip(NEXT) | instid1(VALU_DEP_1)
	v_add_nc_u64_e32 v[8:9], v[8:9], v[12:13]
	v_cmpx_le_i64_e64 v[8:9], v[10:11]
	s_cbranch_execz .LBB6_51
; %bb.49:
	global_load_b32 v1, v2, s[4:5]
	v_mul_u64_e32 v[12:13], s[12:13], v[8:9]
	v_mov_b32_e32 v3, 0
	s_mul_u64 s[0:1], s[12:13], s[18:19]
	s_lshl_b64 s[42:43], s[16:17], 2
	s_lshl_b64 s[0:1], s[0:1], 2
	s_delay_alu instid0(VALU_DEP_1) | instskip(SKIP_3) | instid1(VALU_DEP_4)
	v_mov_b32_e32 v5, v3
	s_wait_xcnt 0x0
	v_add_nc_u64_e32 v[2:3], s[4:5], v[2:3]
	s_sub_nc_u64 s[0:1], s[42:43], s[0:1]
	v_sub_nc_u64_e32 v[6:7], v[6:7], v[12:13]
	v_mul_u64_e32 v[12:13], s[16:17], v[8:9]
	s_delay_alu instid0(VALU_DEP_2) | instskip(NEXT) | instid1(VALU_DEP_2)
	v_mul_u64_e32 v[6:7], s[18:19], v[6:7]
	v_lshlrev_b64_e32 v[12:13], 2, v[12:13]
	s_delay_alu instid0(VALU_DEP_1) | instskip(NEXT) | instid1(VALU_DEP_1)
	v_lshl_add_u64 v[6:7], v[6:7], 2, v[12:13]
	v_add_nc_u64_e32 v[6:7], v[6:7], v[4:5]
	v_add_nc_u64_e32 v[4:5], -1, v[8:9]
	s_delay_alu instid0(VALU_DEP_2)
	v_add_nc_u64_e32 v[6:7], s[6:7], v[6:7]
.LBB6_50:                               ; =>This Inner Loop Header: Depth=1
	global_load_b32 v8, v[6:7], off
	v_add_nc_u64_e32 v[4:5], 1, v[4:5]
	s_wait_xcnt 0x0
	v_add_nc_u64_e32 v[6:7], s[0:1], v[6:7]
	s_delay_alu instid0(VALU_DEP_2)
	v_cmp_ge_i64_e32 vcc_lo, v[4:5], v[10:11]
	s_or_b32 s14, vcc_lo, s14
	s_wait_loadcnt 0x0
	v_add_f32_e32 v1, v1, v8
	global_store_b32 v[2:3], v1, off
	s_wait_xcnt 0x0
	s_and_not1_b32 exec_lo, exec_lo, s14
	s_cbranch_execnz .LBB6_50
.LBB6_51:
	s_or_b32 exec_lo, exec_lo, s15
	v_add_nc_u32_e32 v0, 0x100, v0
	s_or_b32 exec_lo, exec_lo, s29
	s_delay_alu instid0(SALU_CYCLE_1) | instskip(NEXT) | instid1(VALU_DEP_1)
	s_mov_b32 s29, exec_lo
	v_cmpx_gt_i32_e64 s31, v0
	s_cbranch_execz .LBB6_3
.LBB6_52:
	v_cmp_ne_u32_e32 vcc_lo, 1, v14
	s_cbranch_vccnz .LBB6_59
; %bb.53:
	v_dual_mov_b32 v3, 0 :: v_dual_mov_b32 v4, 0
	v_mov_b32_e32 v2, 0
	s_and_not1_b32 vcc_lo, exec_lo, s33
	s_cbranch_vccnz .LBB6_58
; %bb.54:
	v_dual_mov_b32 v2, 0 :: v_dual_mov_b32 v1, v0
	v_dual_mov_b32 v4, 0 :: v_dual_mov_b32 v3, 0
	s_add_co_i32 s14, s22, 1
	s_mov_b64 s[0:1], 0xffffffffffffffe8
	s_and_b32 s14, s14, 30
	s_add_nc_u64 s[0:1], s[40:41], s[0:1]
.LBB6_55:                               ; =>This Inner Loop Header: Depth=1
	s_clause 0x1
	s_load_b128 s[44:47], s[0:1], 0x1c
	s_load_b64 s[42:43], s[0:1], 0x2c
	s_add_co_i32 s14, s14, -2
	s_delay_alu instid0(SALU_CYCLE_1) | instskip(SKIP_2) | instid1(VALU_DEP_1)
	s_cmp_eq_u32 s14, 0
	s_wait_kmcnt 0x0
	v_mul_hi_u32 v5, s45, v1
	v_add_nc_u32_e32 v5, v1, v5
	s_delay_alu instid0(VALU_DEP_1) | instskip(NEXT) | instid1(VALU_DEP_1)
	v_lshrrev_b32_e32 v5, s46, v5
	v_mul_hi_u32 v6, s42, v5
	v_mul_lo_u32 v7, v5, s44
	s_clause 0x1
	s_load_b128 s[48:51], s[0:1], 0xdc
	s_load_b64 s[44:45], s[0:1], 0xec
	s_wait_xcnt 0x0
	s_add_nc_u64 s[0:1], s[0:1], 24
	s_delay_alu instid0(VALU_DEP_2) | instskip(NEXT) | instid1(VALU_DEP_1)
	v_add_nc_u32_e32 v6, v5, v6
	v_dual_sub_nc_u32 v7, v1, v7 :: v_dual_lshrrev_b32 v1, s43, v6
	s_wait_kmcnt 0x0
	s_delay_alu instid0(VALU_DEP_1) | instskip(NEXT) | instid1(VALU_DEP_2)
	v_mad_u32 v2, v7, s48, v2
	v_mul_lo_u32 v6, v1, s47
	v_mad_u32 v3, v7, s50, v3
	v_mad_u32 v4, v7, s49, v4
	s_delay_alu instid0(VALU_DEP_3) | instskip(NEXT) | instid1(VALU_DEP_1)
	v_sub_nc_u32_e32 v5, v5, v6
	v_mad_u32 v2, v5, s51, v2
	s_delay_alu instid0(VALU_DEP_4) | instskip(NEXT) | instid1(VALU_DEP_4)
	v_mad_u32 v3, v5, s45, v3
	v_mad_u32 v4, v5, s44, v4
	s_cbranch_scc0 .LBB6_55
; %bb.56:
	s_bitcmp1_b32 s22, 0
	s_cselect_b32 s14, -1, 0
	s_delay_alu instid0(SALU_CYCLE_1)
	s_and_b32 vcc_lo, exec_lo, s14
	s_cbranch_vccnz .LBB6_58
; %bb.57:
	s_clause 0x1
	s_load_b96 s[44:46], s[0:1], 0x1c
	s_load_b96 s[48:50], s[0:1], 0xdc
	s_wait_kmcnt 0x0
	v_mul_hi_u32 v5, s45, v1
	s_delay_alu instid0(VALU_DEP_1) | instskip(NEXT) | instid1(VALU_DEP_1)
	v_add_nc_u32_e32 v5, v1, v5
	v_lshrrev_b32_e32 v5, s46, v5
	s_delay_alu instid0(VALU_DEP_1) | instskip(NEXT) | instid1(VALU_DEP_1)
	v_mul_lo_u32 v5, v5, s44
	v_sub_nc_u32_e32 v1, v1, v5
	s_delay_alu instid0(VALU_DEP_1)
	v_mad_u32 v2, v1, s48, v2
	v_mad_u32 v4, v1, s49, v4
	;; [unrolled: 1-line block ×3, first 2 shown]
.LBB6_58:
	s_cbranch_execz .LBB6_60
	s_branch .LBB6_62
.LBB6_59:
                                        ; implicit-def: $vgpr3
                                        ; implicit-def: $vgpr4
                                        ; implicit-def: $vgpr2
.LBB6_60:
	v_mov_b32_e32 v1, 0
	s_and_not1_b32 vcc_lo, exec_lo, s20
	s_delay_alu instid0(VALU_DEP_1) | instskip(NEXT) | instid1(VALU_DEP_1)
	v_mul_u64_e32 v[2:3], s[36:37], v[0:1]
	v_add_nc_u32_e32 v2, v0, v3
	s_delay_alu instid0(VALU_DEP_1) | instskip(NEXT) | instid1(VALU_DEP_1)
	v_lshrrev_b32_e32 v6, s23, v2
	v_mul_lo_u32 v2, v6, s21
	s_delay_alu instid0(VALU_DEP_1) | instskip(NEXT) | instid1(VALU_DEP_1)
	v_sub_nc_u32_e32 v4, v0, v2
	v_mul_lo_u32 v2, v4, s24
	v_mul_lo_u32 v3, v4, s26
	;; [unrolled: 1-line block ×3, first 2 shown]
	s_cbranch_vccnz .LBB6_62
; %bb.61:
	v_mov_b32_e32 v7, v1
	s_delay_alu instid0(VALU_DEP_1) | instskip(NEXT) | instid1(VALU_DEP_1)
	v_mul_u64_e32 v[8:9], s[38:39], v[6:7]
	v_add_nc_u32_e32 v1, v6, v9
	s_delay_alu instid0(VALU_DEP_1) | instskip(NEXT) | instid1(VALU_DEP_1)
	v_lshrrev_b32_e32 v1, s30, v1
	v_mul_lo_u32 v1, v1, s28
	s_delay_alu instid0(VALU_DEP_1) | instskip(NEXT) | instid1(VALU_DEP_1)
	v_sub_nc_u32_e32 v1, v6, v1
	v_mad_u32 v2, v1, s27, v2
	v_mad_u32 v4, v1, s34, v4
	;; [unrolled: 1-line block ×3, first 2 shown]
.LBB6_62:
	global_load_b64 v[6:7], v3, s[8:9]
	v_mov_b64_e32 v[8:9], 0
	s_mov_b32 s1, exec_lo
	s_wait_loadcnt 0x0
	v_cmpx_lt_i64_e64 s[10:11], v[6:7]
	s_cbranch_execz .LBB6_68
; %bb.63:
	v_sub_nc_u64_e64 v[12:13], v[6:7], s[10:11]
                                        ; implicit-def: $vgpr8_vgpr9
	s_mov_b32 s0, exec_lo
	s_delay_alu instid0(VALU_DEP_1) | instskip(NEXT) | instid1(VALU_DEP_1)
	v_dual_mov_b32 v10, 0 :: v_dual_bitop2_b32 v11, s13, v13 bitop3:0x54
	v_cmpx_ne_u64_e32 0, v[10:11]
	s_xor_b32 s44, exec_lo, s0
	s_cbranch_execz .LBB6_65
; %bb.64:
	s_ashr_i32 s14, s13, 31
	s_mov_b32 s53, 0
	s_mov_b32 s15, s14
	v_dual_mov_b32 v17, v10 :: v_dual_ashrrev_i32 v8, 31, v13
	s_add_nc_u64 s[42:43], s[12:13], s[14:15]
	v_mov_b32_e32 v19, v10
	s_xor_b64 s[42:43], s[42:43], s[14:15]
	s_delay_alu instid0(VALU_DEP_2)
	v_mov_b32_e32 v9, v8
	s_cvt_f32_u32 s0, s42
	s_cvt_f32_u32 s15, s43
	s_sub_nc_u64 s[48:49], 0, s[42:43]
	v_mov_b32_e32 v25, v10
	v_add_nc_u64_e32 v[12:13], v[12:13], v[8:9]
	s_fmamk_f32 s0, s15, 0x4f800000, s0
	v_mov_b32_e32 v11, v10
	s_delay_alu instid0(SALU_CYCLE_2) | instskip(NEXT) | instid1(VALU_DEP_2)
	v_s_rcp_f32 s0, s0
	v_xor_b32_e32 v16, v12, v8
	s_delay_alu instid0(VALU_DEP_3) | instskip(SKIP_1) | instid1(TRANS32_DEP_1)
	v_xor_b32_e32 v18, v13, v8
	v_xor_b32_e32 v8, s14, v8
	s_mul_f32 s0, s0, 0x5f7ffffc
	s_delay_alu instid0(SALU_CYCLE_3) | instskip(NEXT) | instid1(SALU_CYCLE_3)
	s_mul_f32 s15, s0, 0x2f800000
	s_trunc_f32 s15, s15
	s_delay_alu instid0(SALU_CYCLE_3) | instskip(SKIP_1) | instid1(SALU_CYCLE_2)
	s_fmamk_f32 s0, s15, 0xcf800000, s0
	s_cvt_u32_f32 s47, s15
	s_cvt_u32_f32 s46, s0
	s_delay_alu instid0(SALU_CYCLE_3) | instskip(NEXT) | instid1(SALU_CYCLE_1)
	s_mul_u64 s[50:51], s[48:49], s[46:47]
	s_mul_hi_u32 s55, s46, s51
	s_mul_i32 s54, s46, s51
	s_mul_hi_u32 s52, s46, s50
	s_mul_i32 s15, s47, s50
	s_add_nc_u64 s[54:55], s[52:53], s[54:55]
	s_mul_hi_u32 s0, s47, s50
	s_mul_hi_u32 s45, s47, s51
	s_add_co_u32 s15, s54, s15
	s_add_co_ci_u32 s52, s55, s0
	s_mul_i32 s50, s47, s51
	s_add_co_ci_u32 s51, s45, 0
	s_delay_alu instid0(SALU_CYCLE_1) | instskip(NEXT) | instid1(SALU_CYCLE_1)
	s_add_nc_u64 s[50:51], s[52:53], s[50:51]
	s_add_co_u32 s46, s46, s50
	s_cselect_b32 s0, -1, 0
	s_delay_alu instid0(SALU_CYCLE_1) | instskip(SKIP_1) | instid1(SALU_CYCLE_1)
	s_cmp_lg_u32 s0, 0
	s_add_co_ci_u32 s47, s47, s51
	s_mul_u64 s[48:49], s[48:49], s[46:47]
	s_delay_alu instid0(SALU_CYCLE_1)
	s_mul_hi_u32 s51, s46, s49
	s_mul_i32 s50, s46, s49
	s_mul_hi_u32 s52, s46, s48
	s_mul_i32 s15, s47, s48
	s_add_nc_u64 s[50:51], s[52:53], s[50:51]
	s_mul_hi_u32 s0, s47, s48
	s_mul_hi_u32 s45, s47, s49
	s_add_co_u32 s15, s50, s15
	s_add_co_ci_u32 s52, s51, s0
	s_mul_i32 s48, s47, s49
	s_add_co_ci_u32 s49, s45, 0
	s_delay_alu instid0(SALU_CYCLE_1) | instskip(NEXT) | instid1(SALU_CYCLE_1)
	s_add_nc_u64 s[48:49], s[52:53], s[48:49]
	s_add_co_u32 s0, s46, s48
	s_cselect_b32 s15, -1, 0
	v_mul_hi_u32 v24, v16, s0
	s_cmp_lg_u32 s15, 0
	s_add_co_ci_u32 s52, s47, s49
	s_mov_b64 s[46:47], 0xffffffff
	v_mul_u64_e32 v[20:21], s[52:53], v[16:17]
	s_and_b64 s[46:47], s[0:1], s[46:47]
	v_mul_u64_e32 v[22:23], s[52:53], v[18:19]
	v_mul_u64_e32 v[12:13], s[46:47], v[18:19]
	s_delay_alu instid0(VALU_DEP_3) | instskip(NEXT) | instid1(VALU_DEP_1)
	v_add_nc_u64_e32 v[20:21], v[24:25], v[20:21]
	v_add_co_u32 v1, vcc_lo, v20, v12
	s_delay_alu instid0(VALU_DEP_2) | instskip(SKIP_1) | instid1(VALU_DEP_1)
	v_add_co_ci_u32_e32 v10, vcc_lo, v21, v13, vcc_lo
	v_add_co_ci_u32_e32 v23, vcc_lo, 0, v23, vcc_lo
	v_add_nc_u64_e32 v[10:11], v[10:11], v[22:23]
	s_delay_alu instid0(VALU_DEP_1) | instskip(NEXT) | instid1(VALU_DEP_1)
	v_mul_u64_e32 v[12:13], s[42:43], v[10:11]
	v_sub_nc_u32_e32 v1, v18, v13
	s_delay_alu instid0(VALU_DEP_2) | instskip(NEXT) | instid1(VALU_DEP_1)
	v_sub_co_u32 v3, vcc_lo, v16, v12
	v_sub_co_ci_u32_e64 v9, null, v18, v13, vcc_lo
	s_delay_alu instid0(VALU_DEP_3) | instskip(NEXT) | instid1(VALU_DEP_3)
	v_subrev_co_ci_u32_e64 v1, null, s43, v1, vcc_lo
	v_sub_co_u32 v5, s0, v3, s42
	v_add_nc_u64_e32 v[16:17], 1, v[10:11]
	s_delay_alu instid0(VALU_DEP_3) | instskip(NEXT) | instid1(VALU_DEP_3)
	v_subrev_co_ci_u32_e64 v1, null, 0, v1, s0
	v_cmp_le_u32_e32 vcc_lo, s42, v5
	v_cndmask_b32_e64 v5, 0, -1, vcc_lo
	s_delay_alu instid0(VALU_DEP_3)
	v_cmp_le_u32_e32 vcc_lo, s43, v1
	v_cndmask_b32_e64 v12, 0, -1, vcc_lo
	v_cmp_le_u32_e32 vcc_lo, s42, v3
	v_cndmask_b32_e64 v3, 0, -1, vcc_lo
	;; [unrolled: 2-line block ×3, first 2 shown]
	v_cmp_eq_u32_e32 vcc_lo, s43, v1
	v_cndmask_b32_e32 v1, v12, v5, vcc_lo
	v_cmp_eq_u32_e32 vcc_lo, s43, v9
	v_add_nc_u64_e32 v[12:13], 2, v[10:11]
	v_cndmask_b32_e32 v3, v15, v3, vcc_lo
	s_delay_alu instid0(VALU_DEP_4) | instskip(NEXT) | instid1(VALU_DEP_2)
	v_cmp_ne_u32_e32 vcc_lo, 0, v1
	v_cmp_ne_u32_e64 s0, 0, v3
	s_delay_alu instid0(VALU_DEP_4) | instskip(NEXT) | instid1(VALU_DEP_1)
	v_dual_cndmask_b32 v1, v17, v13, vcc_lo :: v_dual_cndmask_b32 v3, v16, v12, vcc_lo
                                        ; implicit-def: $vgpr12_vgpr13
	v_dual_cndmask_b32 v1, v11, v1, s0 :: v_dual_cndmask_b32 v3, v10, v3, s0
	s_delay_alu instid0(VALU_DEP_1) | instskip(NEXT) | instid1(VALU_DEP_2)
	v_dual_mov_b32 v9, v8 :: v_dual_bitop2_b32 v11, v1, v8 bitop3:0x14
	v_xor_b32_e32 v10, v3, v8
	s_delay_alu instid0(VALU_DEP_1)
	v_sub_nc_u64_e32 v[8:9], v[10:11], v[8:9]
.LBB6_65:
	s_and_not1_saveexec_b32 s0, s44
	s_cbranch_execz .LBB6_67
; %bb.66:
	v_cvt_f32_u32_e32 v1, s12
	s_sub_co_i32 s14, 0, s12
	v_mov_b32_e32 v9, 0
	s_delay_alu instid0(VALU_DEP_2) | instskip(SKIP_1) | instid1(TRANS32_DEP_1)
	v_rcp_iflag_f32_e32 v1, v1
	v_nop
	v_mul_f32_e32 v1, 0x4f7ffffe, v1
	s_delay_alu instid0(VALU_DEP_1) | instskip(NEXT) | instid1(VALU_DEP_1)
	v_cvt_u32_f32_e32 v1, v1
	v_mul_lo_u32 v3, s14, v1
	s_delay_alu instid0(VALU_DEP_1) | instskip(NEXT) | instid1(VALU_DEP_1)
	v_mul_hi_u32 v3, v1, v3
	v_add_nc_u32_e32 v1, v1, v3
	s_delay_alu instid0(VALU_DEP_1) | instskip(NEXT) | instid1(VALU_DEP_1)
	v_mul_hi_u32 v1, v12, v1
	v_mul_lo_u32 v3, v1, s12
	s_delay_alu instid0(VALU_DEP_1) | instskip(NEXT) | instid1(VALU_DEP_1)
	v_sub_nc_u32_e32 v3, v12, v3
	v_subrev_nc_u32_e32 v8, s12, v3
	v_cmp_le_u32_e32 vcc_lo, s12, v3
	s_delay_alu instid0(VALU_DEP_2) | instskip(NEXT) | instid1(VALU_DEP_1)
	v_dual_add_nc_u32 v5, 1, v1 :: v_dual_cndmask_b32 v3, v3, v8, vcc_lo
	v_cndmask_b32_e32 v1, v1, v5, vcc_lo
	s_delay_alu instid0(VALU_DEP_2) | instskip(NEXT) | instid1(VALU_DEP_2)
	v_cmp_le_u32_e32 vcc_lo, s12, v3
	v_add_nc_u32_e32 v5, 1, v1
	s_delay_alu instid0(VALU_DEP_1)
	v_cndmask_b32_e32 v8, v1, v5, vcc_lo
.LBB6_67:
	s_or_b32 exec_lo, exec_lo, s0
.LBB6_68:
	s_delay_alu instid0(SALU_CYCLE_1) | instskip(SKIP_2) | instid1(VALU_DEP_1)
	s_or_b32 exec_lo, exec_lo, s1
	v_dual_mov_b32 v10, 0 :: v_dual_bitop2_b32 v11, s13, v7 bitop3:0x54
                                        ; implicit-def: $vgpr12_vgpr13
	s_mov_b32 s0, exec_lo
	v_cmpx_ne_u64_e32 0, v[10:11]
	s_xor_b32 s1, exec_lo, s0
	s_cbranch_execz .LBB6_70
; %bb.69:
	s_ashr_i32 s14, s13, 31
	s_mov_b32 s51, 0
	s_mov_b32 s15, s14
	v_dual_mov_b32 v19, v10 :: v_dual_ashrrev_i32 v12, 31, v7
	s_add_nc_u64 s[42:43], s[12:13], s[14:15]
	v_mov_b32_e32 v21, v10
	s_xor_b64 s[42:43], s[42:43], s[14:15]
	s_delay_alu instid0(VALU_DEP_2)
	v_mov_b32_e32 v13, v12
	s_cvt_f32_u32 s0, s42
	s_cvt_f32_u32 s15, s43
	s_sub_nc_u64 s[46:47], 0, s[42:43]
	v_mov_b32_e32 v27, v10
	v_add_nc_u64_e32 v[16:17], v[6:7], v[12:13]
	s_fmamk_f32 s0, s15, 0x4f800000, s0
	v_mov_b32_e32 v11, v10
	s_delay_alu instid0(SALU_CYCLE_2) | instskip(NEXT) | instid1(VALU_DEP_2)
	v_s_rcp_f32 s0, s0
	v_xor_b32_e32 v18, v16, v12
	s_delay_alu instid0(VALU_DEP_3) | instskip(SKIP_1) | instid1(TRANS32_DEP_1)
	v_xor_b32_e32 v20, v17, v12
	v_xor_b32_e32 v12, s14, v12
	s_mul_f32 s0, s0, 0x5f7ffffc
	s_delay_alu instid0(SALU_CYCLE_3) | instskip(NEXT) | instid1(SALU_CYCLE_3)
	s_mul_f32 s15, s0, 0x2f800000
	s_trunc_f32 s15, s15
	s_delay_alu instid0(SALU_CYCLE_3) | instskip(SKIP_1) | instid1(SALU_CYCLE_2)
	s_fmamk_f32 s0, s15, 0xcf800000, s0
	s_cvt_u32_f32 s45, s15
	s_cvt_u32_f32 s44, s0
	s_delay_alu instid0(SALU_CYCLE_3) | instskip(NEXT) | instid1(SALU_CYCLE_1)
	s_mul_u64 s[48:49], s[46:47], s[44:45]
	s_mul_hi_u32 s53, s44, s49
	s_mul_i32 s52, s44, s49
	s_mul_hi_u32 s50, s44, s48
	s_mul_i32 s15, s45, s48
	s_add_nc_u64 s[52:53], s[50:51], s[52:53]
	s_mul_hi_u32 s0, s45, s48
	s_mul_hi_u32 s54, s45, s49
	s_add_co_u32 s15, s52, s15
	s_add_co_ci_u32 s50, s53, s0
	s_mul_i32 s48, s45, s49
	s_add_co_ci_u32 s49, s54, 0
	s_delay_alu instid0(SALU_CYCLE_1) | instskip(NEXT) | instid1(SALU_CYCLE_1)
	s_add_nc_u64 s[48:49], s[50:51], s[48:49]
	s_add_co_u32 s44, s44, s48
	s_cselect_b32 s0, -1, 0
	s_delay_alu instid0(SALU_CYCLE_1) | instskip(SKIP_1) | instid1(SALU_CYCLE_1)
	s_cmp_lg_u32 s0, 0
	s_add_co_ci_u32 s45, s45, s49
	s_mul_u64 s[46:47], s[46:47], s[44:45]
	s_delay_alu instid0(SALU_CYCLE_1)
	s_mul_hi_u32 s49, s44, s47
	s_mul_i32 s48, s44, s47
	s_mul_hi_u32 s50, s44, s46
	s_mul_i32 s15, s45, s46
	s_add_nc_u64 s[48:49], s[50:51], s[48:49]
	s_mul_hi_u32 s0, s45, s46
	s_mul_hi_u32 s52, s45, s47
	s_add_co_u32 s15, s48, s15
	s_add_co_ci_u32 s50, s49, s0
	s_mul_i32 s46, s45, s47
	s_add_co_ci_u32 s47, s52, 0
	s_delay_alu instid0(SALU_CYCLE_1) | instskip(NEXT) | instid1(SALU_CYCLE_1)
	s_add_nc_u64 s[46:47], s[50:51], s[46:47]
	s_add_co_u32 s0, s44, s46
	s_cselect_b32 s15, -1, 0
	v_mul_hi_u32 v26, v18, s0
	s_cmp_lg_u32 s15, 0
	s_add_co_ci_u32 s50, s45, s47
	s_mov_b64 s[44:45], 0xffffffff
	v_mul_u64_e32 v[22:23], s[50:51], v[18:19]
	s_and_b64 s[44:45], s[0:1], s[44:45]
	v_mul_u64_e32 v[24:25], s[50:51], v[20:21]
	v_mul_u64_e32 v[16:17], s[44:45], v[20:21]
	s_delay_alu instid0(VALU_DEP_3) | instskip(NEXT) | instid1(VALU_DEP_1)
	v_add_nc_u64_e32 v[22:23], v[26:27], v[22:23]
	v_add_co_u32 v1, vcc_lo, v22, v16
	s_delay_alu instid0(VALU_DEP_2) | instskip(SKIP_1) | instid1(VALU_DEP_1)
	v_add_co_ci_u32_e32 v10, vcc_lo, v23, v17, vcc_lo
	v_add_co_ci_u32_e32 v25, vcc_lo, 0, v25, vcc_lo
	v_add_nc_u64_e32 v[10:11], v[10:11], v[24:25]
	s_delay_alu instid0(VALU_DEP_1) | instskip(NEXT) | instid1(VALU_DEP_1)
	v_mul_u64_e32 v[16:17], s[42:43], v[10:11]
	v_sub_nc_u32_e32 v1, v20, v17
	s_delay_alu instid0(VALU_DEP_2) | instskip(NEXT) | instid1(VALU_DEP_1)
	v_sub_co_u32 v3, vcc_lo, v18, v16
	v_sub_co_ci_u32_e64 v13, null, v20, v17, vcc_lo
	s_delay_alu instid0(VALU_DEP_3) | instskip(NEXT) | instid1(VALU_DEP_3)
	v_subrev_co_ci_u32_e64 v1, null, s43, v1, vcc_lo
	v_sub_co_u32 v5, s0, v3, s42
	v_add_nc_u64_e32 v[16:17], 2, v[10:11]
	s_delay_alu instid0(VALU_DEP_3) | instskip(NEXT) | instid1(VALU_DEP_3)
	v_subrev_co_ci_u32_e64 v1, null, 0, v1, s0
	v_cmp_le_u32_e32 vcc_lo, s42, v5
	v_add_nc_u64_e32 v[18:19], 1, v[10:11]
	v_cndmask_b32_e64 v5, 0, -1, vcc_lo
	s_delay_alu instid0(VALU_DEP_4)
	v_cmp_le_u32_e32 vcc_lo, s43, v1
	v_cndmask_b32_e64 v15, 0, -1, vcc_lo
	v_cmp_le_u32_e32 vcc_lo, s42, v3
	v_cndmask_b32_e64 v3, 0, -1, vcc_lo
	;; [unrolled: 2-line block ×3, first 2 shown]
	v_cmp_eq_u32_e32 vcc_lo, s43, v1
	v_cndmask_b32_e32 v1, v15, v5, vcc_lo
	v_cmp_eq_u32_e32 vcc_lo, s43, v13
	s_delay_alu instid0(VALU_DEP_4) | instskip(NEXT) | instid1(VALU_DEP_3)
	v_cndmask_b32_e32 v3, v20, v3, vcc_lo
	v_cmp_ne_u32_e32 vcc_lo, 0, v1
	s_delay_alu instid0(VALU_DEP_2) | instskip(SKIP_1) | instid1(VALU_DEP_1)
	v_cmp_ne_u32_e64 s0, 0, v3
	v_dual_cndmask_b32 v1, v19, v17, vcc_lo :: v_dual_cndmask_b32 v3, v18, v16, vcc_lo
	v_dual_cndmask_b32 v1, v11, v1, s0 :: v_dual_cndmask_b32 v3, v10, v3, s0
	s_delay_alu instid0(VALU_DEP_1) | instskip(NEXT) | instid1(VALU_DEP_2)
	v_dual_mov_b32 v13, v12 :: v_dual_bitop2_b32 v11, v1, v12 bitop3:0x14
	v_xor_b32_e32 v10, v3, v12
	s_delay_alu instid0(VALU_DEP_1)
	v_sub_nc_u64_e32 v[12:13], v[10:11], v[12:13]
.LBB6_70:
	s_and_not1_saveexec_b32 s0, s1
	s_cbranch_execz .LBB6_72
; %bb.71:
	v_cvt_f32_u32_e32 v1, s12
	s_sub_co_i32 s1, 0, s12
	v_mov_b32_e32 v13, 0
	s_delay_alu instid0(VALU_DEP_2) | instskip(SKIP_1) | instid1(TRANS32_DEP_1)
	v_rcp_iflag_f32_e32 v1, v1
	v_nop
	v_mul_f32_e32 v1, 0x4f7ffffe, v1
	s_delay_alu instid0(VALU_DEP_1) | instskip(NEXT) | instid1(VALU_DEP_1)
	v_cvt_u32_f32_e32 v1, v1
	v_mul_lo_u32 v3, s1, v1
	s_delay_alu instid0(VALU_DEP_1) | instskip(NEXT) | instid1(VALU_DEP_1)
	v_mul_hi_u32 v3, v1, v3
	v_add_nc_u32_e32 v1, v1, v3
	s_delay_alu instid0(VALU_DEP_1) | instskip(NEXT) | instid1(VALU_DEP_1)
	v_mul_hi_u32 v1, v6, v1
	v_mul_lo_u32 v3, v1, s12
	s_delay_alu instid0(VALU_DEP_1) | instskip(NEXT) | instid1(VALU_DEP_1)
	v_sub_nc_u32_e32 v3, v6, v3
	v_subrev_nc_u32_e32 v10, s12, v3
	v_cmp_le_u32_e32 vcc_lo, s12, v3
	s_delay_alu instid0(VALU_DEP_2) | instskip(NEXT) | instid1(VALU_DEP_1)
	v_dual_add_nc_u32 v5, 1, v1 :: v_dual_cndmask_b32 v3, v3, v10, vcc_lo
	v_cndmask_b32_e32 v1, v1, v5, vcc_lo
	s_delay_alu instid0(VALU_DEP_2) | instskip(NEXT) | instid1(VALU_DEP_2)
	v_cmp_le_u32_e32 vcc_lo, s12, v3
	v_add_nc_u32_e32 v5, 1, v1
	s_delay_alu instid0(VALU_DEP_1)
	v_cndmask_b32_e32 v12, v1, v5, vcc_lo
.LBB6_72:
	s_or_b32 exec_lo, exec_lo, s0
	v_mul_u64_e32 v[16:17], s[12:13], v[8:9]
	s_delay_alu instid0(VALU_DEP_2) | instskip(SKIP_2) | instid1(VALU_DEP_2)
	v_min_i64 v[10:11], v[12:13], s[2:3]
	s_mov_b32 s14, 0
	s_mov_b32 s15, exec_lo
	v_add_nc_u64_e32 v[12:13], s[10:11], v[16:17]
	v_cmp_gt_i64_e32 vcc_lo, v[16:17], v[6:7]
	s_delay_alu instid0(VALU_DEP_2) | instskip(SKIP_2) | instid1(SALU_CYCLE_1)
	v_cmp_ge_i64_e64 s0, v[6:7], v[12:13]
	v_mov_b32_e32 v13, s14
	s_or_b32 s0, vcc_lo, s0
	v_cndmask_b32_e64 v12, 0, 1, s0
	s_delay_alu instid0(VALU_DEP_1) | instskip(NEXT) | instid1(VALU_DEP_1)
	v_add_nc_u64_e32 v[8:9], v[8:9], v[12:13]
	v_cmpx_le_i64_e64 v[8:9], v[10:11]
	s_cbranch_execz .LBB6_75
; %bb.73:
	global_load_b32 v1, v2, s[4:5]
	v_mul_u64_e32 v[12:13], s[12:13], v[8:9]
	v_mov_b32_e32 v3, 0
	s_mul_u64 s[0:1], s[12:13], s[18:19]
	s_lshl_b64 s[42:43], s[16:17], 2
	s_lshl_b64 s[0:1], s[0:1], 2
	s_delay_alu instid0(VALU_DEP_1) | instskip(SKIP_3) | instid1(VALU_DEP_4)
	v_mov_b32_e32 v5, v3
	s_wait_xcnt 0x0
	v_add_nc_u64_e32 v[2:3], s[4:5], v[2:3]
	s_sub_nc_u64 s[0:1], s[42:43], s[0:1]
	v_sub_nc_u64_e32 v[6:7], v[6:7], v[12:13]
	v_mul_u64_e32 v[12:13], s[16:17], v[8:9]
	s_delay_alu instid0(VALU_DEP_2) | instskip(NEXT) | instid1(VALU_DEP_2)
	v_mul_u64_e32 v[6:7], s[18:19], v[6:7]
	v_lshlrev_b64_e32 v[12:13], 2, v[12:13]
	s_delay_alu instid0(VALU_DEP_1) | instskip(NEXT) | instid1(VALU_DEP_1)
	v_lshl_add_u64 v[6:7], v[6:7], 2, v[12:13]
	v_add_nc_u64_e32 v[6:7], v[6:7], v[4:5]
	v_add_nc_u64_e32 v[4:5], -1, v[8:9]
	s_delay_alu instid0(VALU_DEP_2)
	v_add_nc_u64_e32 v[6:7], s[6:7], v[6:7]
.LBB6_74:                               ; =>This Inner Loop Header: Depth=1
	global_load_b32 v8, v[6:7], off
	v_add_nc_u64_e32 v[4:5], 1, v[4:5]
	s_wait_xcnt 0x0
	v_add_nc_u64_e32 v[6:7], s[0:1], v[6:7]
	s_delay_alu instid0(VALU_DEP_2)
	v_cmp_ge_i64_e32 vcc_lo, v[4:5], v[10:11]
	s_or_b32 s14, vcc_lo, s14
	s_wait_loadcnt 0x0
	v_add_f32_e32 v1, v1, v8
	global_store_b32 v[2:3], v1, off
	s_wait_xcnt 0x0
	s_and_not1_b32 exec_lo, exec_lo, s14
	s_cbranch_execnz .LBB6_74
.LBB6_75:
	s_or_b32 exec_lo, exec_lo, s15
	v_add_nc_u32_e32 v0, 0x100, v0
	s_or_b32 exec_lo, exec_lo, s29
	s_delay_alu instid0(SALU_CYCLE_1) | instskip(NEXT) | instid1(VALU_DEP_1)
	s_mov_b32 s0, exec_lo
	v_cmpx_gt_i32_e64 s31, v0
	s_cbranch_execz .LBB6_99
.LBB6_76:
	v_cmp_ne_u32_e32 vcc_lo, 1, v14
	s_cbranch_vccnz .LBB6_83
; %bb.77:
	v_dual_mov_b32 v3, 0 :: v_dual_mov_b32 v4, 0
	v_mov_b32_e32 v2, 0
	s_and_not1_b32 vcc_lo, exec_lo, s33
	s_cbranch_vccnz .LBB6_82
; %bb.78:
	v_dual_mov_b32 v2, 0 :: v_dual_mov_b32 v1, v0
	v_dual_mov_b32 v4, 0 :: v_dual_mov_b32 v3, 0
	s_add_co_i32 s14, s22, 1
	s_mov_b64 s[0:1], 0xffffffffffffffe8
	s_and_b32 s14, s14, 30
	s_add_nc_u64 s[0:1], s[40:41], s[0:1]
.LBB6_79:                               ; =>This Inner Loop Header: Depth=1
	s_clause 0x1
	s_load_b128 s[40:43], s[0:1], 0x1c
	s_load_b64 s[48:49], s[0:1], 0x2c
	s_add_co_i32 s14, s14, -2
	s_delay_alu instid0(SALU_CYCLE_1) | instskip(SKIP_2) | instid1(VALU_DEP_1)
	s_cmp_eq_u32 s14, 0
	s_wait_kmcnt 0x0
	v_mul_hi_u32 v5, s41, v1
	v_add_nc_u32_e32 v5, v1, v5
	s_delay_alu instid0(VALU_DEP_1) | instskip(NEXT) | instid1(VALU_DEP_1)
	v_lshrrev_b32_e32 v5, s42, v5
	v_mul_hi_u32 v6, s48, v5
	v_mul_lo_u32 v7, v5, s40
	s_clause 0x1
	s_load_b128 s[44:47], s[0:1], 0xdc
	s_load_b64 s[40:41], s[0:1], 0xec
	s_wait_xcnt 0x0
	s_add_nc_u64 s[0:1], s[0:1], 24
	s_delay_alu instid0(VALU_DEP_2) | instskip(NEXT) | instid1(VALU_DEP_1)
	v_add_nc_u32_e32 v6, v5, v6
	v_dual_sub_nc_u32 v7, v1, v7 :: v_dual_lshrrev_b32 v1, s49, v6
	s_wait_kmcnt 0x0
	s_delay_alu instid0(VALU_DEP_1) | instskip(NEXT) | instid1(VALU_DEP_2)
	v_mad_u32 v2, v7, s44, v2
	v_mul_lo_u32 v6, v1, s43
	v_mad_u32 v3, v7, s46, v3
	v_mad_u32 v4, v7, s45, v4
	s_delay_alu instid0(VALU_DEP_3) | instskip(NEXT) | instid1(VALU_DEP_1)
	v_sub_nc_u32_e32 v5, v5, v6
	v_mad_u32 v2, v5, s47, v2
	s_delay_alu instid0(VALU_DEP_4) | instskip(NEXT) | instid1(VALU_DEP_4)
	v_mad_u32 v3, v5, s41, v3
	v_mad_u32 v4, v5, s40, v4
	s_cbranch_scc0 .LBB6_79
; %bb.80:
	s_bitcmp1_b32 s22, 0
	s_cselect_b32 s14, -1, 0
	s_delay_alu instid0(SALU_CYCLE_1)
	s_and_b32 vcc_lo, exec_lo, s14
	s_cbranch_vccnz .LBB6_82
; %bb.81:
	s_clause 0x1
	s_load_b96 s[40:42], s[0:1], 0x1c
	s_load_b96 s[44:46], s[0:1], 0xdc
	s_wait_kmcnt 0x0
	v_mul_hi_u32 v5, s41, v1
	s_delay_alu instid0(VALU_DEP_1) | instskip(NEXT) | instid1(VALU_DEP_1)
	v_add_nc_u32_e32 v5, v1, v5
	v_lshrrev_b32_e32 v5, s42, v5
	s_delay_alu instid0(VALU_DEP_1) | instskip(NEXT) | instid1(VALU_DEP_1)
	v_mul_lo_u32 v5, v5, s40
	v_sub_nc_u32_e32 v1, v1, v5
	s_delay_alu instid0(VALU_DEP_1)
	v_mad_u32 v2, v1, s44, v2
	v_mad_u32 v4, v1, s45, v4
	;; [unrolled: 1-line block ×3, first 2 shown]
.LBB6_82:
	s_cbranch_execz .LBB6_84
	s_branch .LBB6_86
.LBB6_83:
                                        ; implicit-def: $vgpr3
                                        ; implicit-def: $vgpr4
                                        ; implicit-def: $vgpr2
.LBB6_84:
	v_mov_b32_e32 v1, 0
	s_and_not1_b32 vcc_lo, exec_lo, s20
	s_delay_alu instid0(VALU_DEP_1) | instskip(NEXT) | instid1(VALU_DEP_1)
	v_mul_u64_e32 v[2:3], s[36:37], v[0:1]
	v_add_nc_u32_e32 v2, v0, v3
	s_delay_alu instid0(VALU_DEP_1) | instskip(NEXT) | instid1(VALU_DEP_1)
	v_lshrrev_b32_e32 v6, s23, v2
	v_mul_lo_u32 v2, v6, s21
	s_delay_alu instid0(VALU_DEP_1) | instskip(NEXT) | instid1(VALU_DEP_1)
	v_sub_nc_u32_e32 v0, v0, v2
	v_mul_lo_u32 v2, v0, s24
	v_mul_lo_u32 v3, v0, s26
	;; [unrolled: 1-line block ×3, first 2 shown]
	s_cbranch_vccnz .LBB6_86
; %bb.85:
	v_mov_b32_e32 v7, v1
	s_delay_alu instid0(VALU_DEP_1) | instskip(NEXT) | instid1(VALU_DEP_1)
	v_mul_u64_e32 v[0:1], s[38:39], v[6:7]
	v_add_nc_u32_e32 v0, v6, v1
	s_delay_alu instid0(VALU_DEP_1) | instskip(NEXT) | instid1(VALU_DEP_1)
	v_lshrrev_b32_e32 v0, s30, v0
	v_mul_lo_u32 v0, v0, s28
	s_delay_alu instid0(VALU_DEP_1) | instskip(NEXT) | instid1(VALU_DEP_1)
	v_sub_nc_u32_e32 v0, v6, v0
	v_mad_u32 v2, v0, s27, v2
	v_mad_u32 v4, v0, s34, v4
	;; [unrolled: 1-line block ×3, first 2 shown]
.LBB6_86:
	global_load_b64 v[0:1], v3, s[8:9]
	v_mov_b64_e32 v[6:7], 0
	s_mov_b32 s1, exec_lo
	s_wait_loadcnt 0x0
	v_cmpx_lt_i64_e64 s[10:11], v[0:1]
	s_cbranch_execz .LBB6_92
; %bb.87:
	v_sub_nc_u64_e64 v[10:11], v[0:1], s[10:11]
                                        ; implicit-def: $vgpr6_vgpr7
	s_mov_b32 s0, exec_lo
	s_delay_alu instid0(VALU_DEP_1) | instskip(NEXT) | instid1(VALU_DEP_1)
	v_dual_mov_b32 v8, 0 :: v_dual_bitop2_b32 v9, s13, v11 bitop3:0x54
	v_cmpx_ne_u64_e32 0, v[8:9]
	s_xor_b32 s20, exec_lo, s0
	s_cbranch_execz .LBB6_89
; %bb.88:
	s_ashr_i32 s8, s13, 31
	s_mov_b32 s29, 0
	s_mov_b32 s9, s8
	v_dual_mov_b32 v13, v8 :: v_dual_ashrrev_i32 v6, 31, v11
	s_add_nc_u64 s[14:15], s[12:13], s[8:9]
	v_mov_b32_e32 v15, v8
	s_xor_b64 s[14:15], s[14:15], s[8:9]
	s_delay_alu instid0(VALU_DEP_2)
	v_mov_b32_e32 v7, v6
	s_cvt_f32_u32 s0, s14
	s_cvt_f32_u32 s9, s15
	s_sub_nc_u64 s[24:25], 0, s[14:15]
	v_mov_b32_e32 v21, v8
	v_add_nc_u64_e32 v[10:11], v[10:11], v[6:7]
	s_fmamk_f32 s0, s9, 0x4f800000, s0
	v_mov_b32_e32 v9, v8
	s_delay_alu instid0(SALU_CYCLE_2) | instskip(NEXT) | instid1(VALU_DEP_2)
	v_s_rcp_f32 s0, s0
	v_xor_b32_e32 v12, v10, v6
	s_delay_alu instid0(VALU_DEP_3) | instskip(SKIP_1) | instid1(TRANS32_DEP_1)
	v_xor_b32_e32 v14, v11, v6
	v_xor_b32_e32 v6, s8, v6
	s_mul_f32 s0, s0, 0x5f7ffffc
	s_delay_alu instid0(SALU_CYCLE_3) | instskip(NEXT) | instid1(SALU_CYCLE_3)
	s_mul_f32 s9, s0, 0x2f800000
	s_trunc_f32 s9, s9
	s_delay_alu instid0(SALU_CYCLE_3) | instskip(SKIP_1) | instid1(SALU_CYCLE_2)
	s_fmamk_f32 s0, s9, 0xcf800000, s0
	s_cvt_u32_f32 s23, s9
	s_cvt_u32_f32 s22, s0
	s_delay_alu instid0(SALU_CYCLE_3) | instskip(NEXT) | instid1(SALU_CYCLE_1)
	s_mul_u64 s[26:27], s[24:25], s[22:23]
	s_mul_hi_u32 s31, s22, s27
	s_mul_i32 s30, s22, s27
	s_mul_hi_u32 s28, s22, s26
	s_mul_i32 s9, s23, s26
	s_add_nc_u64 s[30:31], s[28:29], s[30:31]
	s_mul_hi_u32 s0, s23, s26
	s_mul_hi_u32 s21, s23, s27
	s_add_co_u32 s9, s30, s9
	s_add_co_ci_u32 s28, s31, s0
	s_mul_i32 s26, s23, s27
	s_add_co_ci_u32 s27, s21, 0
	s_delay_alu instid0(SALU_CYCLE_1) | instskip(NEXT) | instid1(SALU_CYCLE_1)
	s_add_nc_u64 s[26:27], s[28:29], s[26:27]
	s_add_co_u32 s22, s22, s26
	s_cselect_b32 s0, -1, 0
	s_delay_alu instid0(SALU_CYCLE_1) | instskip(SKIP_1) | instid1(SALU_CYCLE_1)
	s_cmp_lg_u32 s0, 0
	s_add_co_ci_u32 s23, s23, s27
	s_mul_u64 s[24:25], s[24:25], s[22:23]
	s_delay_alu instid0(SALU_CYCLE_1)
	s_mul_hi_u32 s27, s22, s25
	s_mul_i32 s26, s22, s25
	s_mul_hi_u32 s28, s22, s24
	s_mul_i32 s9, s23, s24
	s_add_nc_u64 s[26:27], s[28:29], s[26:27]
	s_mul_hi_u32 s0, s23, s24
	s_mul_hi_u32 s21, s23, s25
	s_add_co_u32 s9, s26, s9
	s_add_co_ci_u32 s28, s27, s0
	s_mul_i32 s24, s23, s25
	s_add_co_ci_u32 s25, s21, 0
	s_delay_alu instid0(SALU_CYCLE_1) | instskip(NEXT) | instid1(SALU_CYCLE_1)
	s_add_nc_u64 s[24:25], s[28:29], s[24:25]
	s_add_co_u32 s0, s22, s24
	s_cselect_b32 s9, -1, 0
	v_mul_hi_u32 v20, v12, s0
	s_cmp_lg_u32 s9, 0
	s_add_co_ci_u32 s28, s23, s25
	s_mov_b64 s[22:23], 0xffffffff
	v_mul_u64_e32 v[16:17], s[28:29], v[12:13]
	s_and_b64 s[22:23], s[0:1], s[22:23]
	v_mul_u64_e32 v[18:19], s[28:29], v[14:15]
	v_mul_u64_e32 v[10:11], s[22:23], v[14:15]
	s_delay_alu instid0(VALU_DEP_3) | instskip(NEXT) | instid1(VALU_DEP_1)
	v_add_nc_u64_e32 v[16:17], v[20:21], v[16:17]
	v_add_co_u32 v3, vcc_lo, v16, v10
	s_delay_alu instid0(VALU_DEP_2) | instskip(SKIP_1) | instid1(VALU_DEP_1)
	v_add_co_ci_u32_e32 v8, vcc_lo, v17, v11, vcc_lo
	v_add_co_ci_u32_e32 v19, vcc_lo, 0, v19, vcc_lo
	v_add_nc_u64_e32 v[8:9], v[8:9], v[18:19]
	s_delay_alu instid0(VALU_DEP_1) | instskip(NEXT) | instid1(VALU_DEP_1)
	v_mul_u64_e32 v[10:11], s[14:15], v[8:9]
	v_sub_nc_u32_e32 v3, v14, v11
	s_delay_alu instid0(VALU_DEP_2) | instskip(NEXT) | instid1(VALU_DEP_1)
	v_sub_co_u32 v5, vcc_lo, v12, v10
	v_sub_co_ci_u32_e64 v14, null, v14, v11, vcc_lo
	s_delay_alu instid0(VALU_DEP_3) | instskip(NEXT) | instid1(VALU_DEP_3)
	v_subrev_co_ci_u32_e64 v3, null, s15, v3, vcc_lo
	v_sub_co_u32 v7, s0, v5, s14
	v_add_nc_u64_e32 v[12:13], 1, v[8:9]
	s_delay_alu instid0(VALU_DEP_3) | instskip(NEXT) | instid1(VALU_DEP_3)
	v_subrev_co_ci_u32_e64 v3, null, 0, v3, s0
	v_cmp_le_u32_e32 vcc_lo, s14, v7
	v_cndmask_b32_e64 v7, 0, -1, vcc_lo
	s_delay_alu instid0(VALU_DEP_3)
	v_cmp_le_u32_e32 vcc_lo, s15, v3
	v_cndmask_b32_e64 v10, 0, -1, vcc_lo
	v_cmp_le_u32_e32 vcc_lo, s14, v5
	v_cndmask_b32_e64 v5, 0, -1, vcc_lo
	;; [unrolled: 2-line block ×3, first 2 shown]
	v_cmp_eq_u32_e32 vcc_lo, s15, v3
	v_cndmask_b32_e32 v3, v10, v7, vcc_lo
	v_cmp_eq_u32_e32 vcc_lo, s15, v14
	v_add_nc_u64_e32 v[10:11], 2, v[8:9]
	v_cndmask_b32_e32 v5, v15, v5, vcc_lo
	s_delay_alu instid0(VALU_DEP_4) | instskip(NEXT) | instid1(VALU_DEP_2)
	v_cmp_ne_u32_e32 vcc_lo, 0, v3
	v_cmp_ne_u32_e64 s0, 0, v5
	s_delay_alu instid0(VALU_DEP_4) | instskip(NEXT) | instid1(VALU_DEP_1)
	v_dual_cndmask_b32 v3, v13, v11, vcc_lo :: v_dual_cndmask_b32 v5, v12, v10, vcc_lo
                                        ; implicit-def: $vgpr10_vgpr11
	v_dual_cndmask_b32 v3, v9, v3, s0 :: v_dual_cndmask_b32 v5, v8, v5, s0
	s_delay_alu instid0(VALU_DEP_1) | instskip(NEXT) | instid1(VALU_DEP_2)
	v_dual_mov_b32 v7, v6 :: v_dual_bitop2_b32 v9, v3, v6 bitop3:0x14
	v_xor_b32_e32 v8, v5, v6
	s_delay_alu instid0(VALU_DEP_1)
	v_sub_nc_u64_e32 v[6:7], v[8:9], v[6:7]
.LBB6_89:
	s_and_not1_saveexec_b32 s0, s20
	s_cbranch_execz .LBB6_91
; %bb.90:
	v_cvt_f32_u32_e32 v3, s12
	s_sub_co_i32 s8, 0, s12
	s_delay_alu instid0(VALU_DEP_1) | instskip(SKIP_1) | instid1(TRANS32_DEP_1)
	v_rcp_iflag_f32_e32 v3, v3
	v_nop
	v_mul_f32_e32 v3, 0x4f7ffffe, v3
	s_delay_alu instid0(VALU_DEP_1) | instskip(NEXT) | instid1(VALU_DEP_1)
	v_cvt_u32_f32_e32 v3, v3
	v_mul_lo_u32 v5, s8, v3
	s_delay_alu instid0(VALU_DEP_1) | instskip(NEXT) | instid1(VALU_DEP_1)
	v_mul_hi_u32 v5, v3, v5
	v_add_nc_u32_e32 v3, v3, v5
	s_delay_alu instid0(VALU_DEP_1) | instskip(NEXT) | instid1(VALU_DEP_1)
	v_mul_hi_u32 v3, v10, v3
	v_mul_lo_u32 v5, v3, s12
	s_delay_alu instid0(VALU_DEP_1) | instskip(NEXT) | instid1(VALU_DEP_1)
	v_dual_add_nc_u32 v6, 1, v3 :: v_dual_sub_nc_u32 v5, v10, v5
	v_subrev_nc_u32_e32 v7, s12, v5
	v_cmp_le_u32_e32 vcc_lo, s12, v5
	s_delay_alu instid0(VALU_DEP_2) | instskip(NEXT) | instid1(VALU_DEP_4)
	v_dual_cndmask_b32 v5, v5, v7, vcc_lo :: v_dual_mov_b32 v7, 0
	v_cndmask_b32_e32 v3, v3, v6, vcc_lo
	s_delay_alu instid0(VALU_DEP_2) | instskip(NEXT) | instid1(VALU_DEP_2)
	v_cmp_le_u32_e32 vcc_lo, s12, v5
	v_add_nc_u32_e32 v6, 1, v3
	s_delay_alu instid0(VALU_DEP_1)
	v_cndmask_b32_e32 v6, v3, v6, vcc_lo
.LBB6_91:
	s_or_b32 exec_lo, exec_lo, s0
.LBB6_92:
	s_delay_alu instid0(SALU_CYCLE_1) | instskip(SKIP_2) | instid1(VALU_DEP_1)
	s_or_b32 exec_lo, exec_lo, s1
	v_dual_mov_b32 v8, 0 :: v_dual_bitop2_b32 v9, s13, v1 bitop3:0x54
                                        ; implicit-def: $vgpr10_vgpr11
	s_mov_b32 s0, exec_lo
	v_cmpx_ne_u64_e32 0, v[8:9]
	s_xor_b32 s1, exec_lo, s0
	s_cbranch_execz .LBB6_94
; %bb.93:
	s_ashr_i32 s8, s13, 31
	s_mov_b32 s27, 0
	s_mov_b32 s9, s8
	v_dual_mov_b32 v15, v8 :: v_dual_ashrrev_i32 v10, 31, v1
	s_add_nc_u64 s[14:15], s[12:13], s[8:9]
	v_dual_mov_b32 v23, v8 :: v_dual_mov_b32 v9, v8
	s_xor_b64 s[14:15], s[14:15], s[8:9]
	s_delay_alu instid0(VALU_DEP_2) | instskip(SKIP_3) | instid1(VALU_DEP_1)
	v_mov_b32_e32 v11, v10
	s_cvt_f32_u32 s0, s14
	s_cvt_f32_u32 s9, s15
	s_sub_nc_u64 s[22:23], 0, s[14:15]
	v_add_nc_u64_e32 v[12:13], v[0:1], v[10:11]
	s_delay_alu instid0(SALU_CYCLE_1) | instskip(SKIP_1) | instid1(SALU_CYCLE_2)
	s_fmamk_f32 s0, s9, 0x4f800000, s0
	v_mov_b32_e32 v17, v8
	v_s_rcp_f32 s0, s0
	s_delay_alu instid0(VALU_DEP_2) | instskip(NEXT) | instid1(VALU_DEP_3)
	v_xor_b32_e32 v14, v12, v10
	v_xor_b32_e32 v16, v13, v10
	;; [unrolled: 1-line block ×3, first 2 shown]
	s_delay_alu instid0(TRANS32_DEP_1) | instskip(NEXT) | instid1(SALU_CYCLE_3)
	s_mul_f32 s0, s0, 0x5f7ffffc
	s_mul_f32 s9, s0, 0x2f800000
	s_delay_alu instid0(SALU_CYCLE_3) | instskip(NEXT) | instid1(SALU_CYCLE_3)
	s_trunc_f32 s9, s9
	s_fmamk_f32 s0, s9, 0xcf800000, s0
	s_cvt_u32_f32 s21, s9
	s_delay_alu instid0(SALU_CYCLE_2) | instskip(NEXT) | instid1(SALU_CYCLE_3)
	s_cvt_u32_f32 s20, s0
	s_mul_u64 s[24:25], s[22:23], s[20:21]
	s_delay_alu instid0(SALU_CYCLE_1)
	s_mul_hi_u32 s29, s20, s25
	s_mul_i32 s28, s20, s25
	s_mul_hi_u32 s26, s20, s24
	s_mul_i32 s9, s21, s24
	s_add_nc_u64 s[28:29], s[26:27], s[28:29]
	s_mul_hi_u32 s0, s21, s24
	s_mul_hi_u32 s30, s21, s25
	s_add_co_u32 s9, s28, s9
	s_add_co_ci_u32 s26, s29, s0
	s_mul_i32 s24, s21, s25
	s_add_co_ci_u32 s25, s30, 0
	s_delay_alu instid0(SALU_CYCLE_1) | instskip(NEXT) | instid1(SALU_CYCLE_1)
	s_add_nc_u64 s[24:25], s[26:27], s[24:25]
	s_add_co_u32 s20, s20, s24
	s_cselect_b32 s0, -1, 0
	s_delay_alu instid0(SALU_CYCLE_1) | instskip(SKIP_1) | instid1(SALU_CYCLE_1)
	s_cmp_lg_u32 s0, 0
	s_add_co_ci_u32 s21, s21, s25
	s_mul_u64 s[22:23], s[22:23], s[20:21]
	s_delay_alu instid0(SALU_CYCLE_1)
	s_mul_hi_u32 s25, s20, s23
	s_mul_i32 s24, s20, s23
	s_mul_hi_u32 s26, s20, s22
	s_mul_i32 s9, s21, s22
	s_add_nc_u64 s[24:25], s[26:27], s[24:25]
	s_mul_hi_u32 s0, s21, s22
	s_mul_hi_u32 s28, s21, s23
	s_add_co_u32 s9, s24, s9
	s_add_co_ci_u32 s26, s25, s0
	s_mul_i32 s22, s21, s23
	s_add_co_ci_u32 s23, s28, 0
	s_delay_alu instid0(SALU_CYCLE_1) | instskip(NEXT) | instid1(SALU_CYCLE_1)
	s_add_nc_u64 s[22:23], s[26:27], s[22:23]
	s_add_co_u32 s0, s20, s22
	s_cselect_b32 s9, -1, 0
	v_mul_hi_u32 v22, v14, s0
	s_cmp_lg_u32 s9, 0
	s_add_co_ci_u32 s26, s21, s23
	s_mov_b64 s[20:21], 0xffffffff
	v_mul_u64_e32 v[18:19], s[26:27], v[14:15]
	s_and_b64 s[20:21], s[0:1], s[20:21]
	v_mul_u64_e32 v[20:21], s[26:27], v[16:17]
	v_mul_u64_e32 v[12:13], s[20:21], v[16:17]
	s_delay_alu instid0(VALU_DEP_3) | instskip(NEXT) | instid1(VALU_DEP_1)
	v_add_nc_u64_e32 v[18:19], v[22:23], v[18:19]
	v_add_co_u32 v3, vcc_lo, v18, v12
	s_delay_alu instid0(VALU_DEP_2) | instskip(SKIP_1) | instid1(VALU_DEP_1)
	v_add_co_ci_u32_e32 v8, vcc_lo, v19, v13, vcc_lo
	v_add_co_ci_u32_e32 v21, vcc_lo, 0, v21, vcc_lo
	v_add_nc_u64_e32 v[8:9], v[8:9], v[20:21]
	s_delay_alu instid0(VALU_DEP_1) | instskip(NEXT) | instid1(VALU_DEP_1)
	v_mul_u64_e32 v[12:13], s[14:15], v[8:9]
	v_sub_co_u32 v5, vcc_lo, v14, v12
	v_add_nc_u64_e32 v[14:15], 1, v[8:9]
	s_delay_alu instid0(VALU_DEP_3) | instskip(SKIP_1) | instid1(VALU_DEP_4)
	v_sub_nc_u32_e32 v3, v16, v13
	v_sub_co_ci_u32_e64 v16, null, v16, v13, vcc_lo
	v_sub_co_u32 v11, s0, v5, s14
	s_delay_alu instid0(VALU_DEP_3) | instskip(NEXT) | instid1(VALU_DEP_2)
	v_subrev_co_ci_u32_e64 v3, null, s15, v3, vcc_lo
	v_cmp_le_u32_e32 vcc_lo, s14, v11
	s_delay_alu instid0(VALU_DEP_2) | instskip(SKIP_1) | instid1(VALU_DEP_2)
	v_subrev_co_ci_u32_e64 v3, null, 0, v3, s0
	v_cndmask_b32_e64 v11, 0, -1, vcc_lo
	v_cmp_le_u32_e32 vcc_lo, s15, v3
	v_cndmask_b32_e64 v12, 0, -1, vcc_lo
	v_cmp_le_u32_e32 vcc_lo, s14, v5
	v_cndmask_b32_e64 v5, 0, -1, vcc_lo
	v_cmp_le_u32_e32 vcc_lo, s15, v16
	v_cndmask_b32_e64 v17, 0, -1, vcc_lo
	v_cmp_eq_u32_e32 vcc_lo, s15, v3
	v_cndmask_b32_e32 v3, v12, v11, vcc_lo
	v_cmp_eq_u32_e32 vcc_lo, s15, v16
	v_add_nc_u64_e32 v[12:13], 2, v[8:9]
	v_cndmask_b32_e32 v5, v17, v5, vcc_lo
	s_delay_alu instid0(VALU_DEP_4) | instskip(NEXT) | instid1(VALU_DEP_2)
	v_cmp_ne_u32_e32 vcc_lo, 0, v3
	v_cmp_ne_u32_e64 s0, 0, v5
	s_delay_alu instid0(VALU_DEP_4) | instskip(NEXT) | instid1(VALU_DEP_1)
	v_dual_cndmask_b32 v3, v15, v13, vcc_lo :: v_dual_cndmask_b32 v5, v14, v12, vcc_lo
	v_dual_cndmask_b32 v3, v9, v3, s0 :: v_dual_cndmask_b32 v5, v8, v5, s0
	s_delay_alu instid0(VALU_DEP_1) | instskip(NEXT) | instid1(VALU_DEP_2)
	v_dual_mov_b32 v11, v10 :: v_dual_bitop2_b32 v9, v3, v10 bitop3:0x14
	v_xor_b32_e32 v8, v5, v10
	s_delay_alu instid0(VALU_DEP_1)
	v_sub_nc_u64_e32 v[10:11], v[8:9], v[10:11]
.LBB6_94:
	s_and_not1_saveexec_b32 s0, s1
	s_cbranch_execz .LBB6_96
; %bb.95:
	v_cvt_f32_u32_e32 v3, s12
	s_sub_co_i32 s1, 0, s12
	v_mov_b32_e32 v11, 0
	s_delay_alu instid0(VALU_DEP_2) | instskip(SKIP_1) | instid1(TRANS32_DEP_1)
	v_rcp_iflag_f32_e32 v3, v3
	v_nop
	v_mul_f32_e32 v3, 0x4f7ffffe, v3
	s_delay_alu instid0(VALU_DEP_1) | instskip(NEXT) | instid1(VALU_DEP_1)
	v_cvt_u32_f32_e32 v3, v3
	v_mul_lo_u32 v5, s1, v3
	s_delay_alu instid0(VALU_DEP_1) | instskip(NEXT) | instid1(VALU_DEP_1)
	v_mul_hi_u32 v5, v3, v5
	v_add_nc_u32_e32 v3, v3, v5
	s_delay_alu instid0(VALU_DEP_1) | instskip(NEXT) | instid1(VALU_DEP_1)
	v_mul_hi_u32 v3, v0, v3
	v_mul_lo_u32 v5, v3, s12
	s_delay_alu instid0(VALU_DEP_1) | instskip(NEXT) | instid1(VALU_DEP_1)
	v_sub_nc_u32_e32 v5, v0, v5
	v_subrev_nc_u32_e32 v9, s12, v5
	v_cmp_le_u32_e32 vcc_lo, s12, v5
	s_delay_alu instid0(VALU_DEP_2) | instskip(NEXT) | instid1(VALU_DEP_1)
	v_dual_cndmask_b32 v5, v5, v9 :: v_dual_add_nc_u32 v8, 1, v3
	v_cndmask_b32_e32 v3, v3, v8, vcc_lo
	s_delay_alu instid0(VALU_DEP_2) | instskip(NEXT) | instid1(VALU_DEP_2)
	v_cmp_le_u32_e32 vcc_lo, s12, v5
	v_add_nc_u32_e32 v8, 1, v3
	s_delay_alu instid0(VALU_DEP_1)
	v_cndmask_b32_e32 v10, v3, v8, vcc_lo
.LBB6_96:
	s_or_b32 exec_lo, exec_lo, s0
	v_mul_u64_e32 v[12:13], s[12:13], v[6:7]
	s_delay_alu instid0(VALU_DEP_2) | instskip(SKIP_1) | instid1(VALU_DEP_2)
	v_min_i64 v[8:9], v[10:11], s[2:3]
	s_mov_b32 s2, 0
	v_add_nc_u64_e32 v[10:11], s[10:11], v[12:13]
	v_cmp_gt_i64_e32 vcc_lo, v[12:13], v[0:1]
	s_delay_alu instid0(VALU_DEP_2) | instskip(SKIP_2) | instid1(SALU_CYCLE_1)
	v_cmp_ge_i64_e64 s0, v[0:1], v[10:11]
	v_mov_b32_e32 v11, s2
	s_or_b32 s0, vcc_lo, s0
	v_cndmask_b32_e64 v10, 0, 1, s0
	s_delay_alu instid0(VALU_DEP_1) | instskip(NEXT) | instid1(VALU_DEP_1)
	v_add_nc_u64_e32 v[6:7], v[6:7], v[10:11]
	v_cmp_le_i64_e32 vcc_lo, v[6:7], v[8:9]
	s_and_b32 exec_lo, exec_lo, vcc_lo
	s_cbranch_execz .LBB6_99
; %bb.97:
	global_load_b32 v10, v2, s[4:5]
	v_mul_u64_e32 v[12:13], s[12:13], v[6:7]
	v_mov_b32_e32 v3, 0
	s_mul_u64 s[0:1], s[12:13], s[18:19]
	s_delay_alu instid0(SALU_CYCLE_1) | instskip(NEXT) | instid1(VALU_DEP_1)
	s_lshl_b64 s[0:1], s[0:1], 2
	v_mov_b32_e32 v5, v3
	s_delay_alu instid0(VALU_DEP_3) | instskip(SKIP_1) | instid1(VALU_DEP_2)
	v_sub_nc_u64_e32 v[0:1], v[0:1], v[12:13]
	v_mul_u64_e32 v[12:13], s[16:17], v[6:7]
	v_mul_u64_e32 v[0:1], s[18:19], v[0:1]
	s_delay_alu instid0(VALU_DEP_2) | instskip(NEXT) | instid1(VALU_DEP_1)
	v_lshlrev_b64_e32 v[12:13], 2, v[12:13]
	v_lshl_add_u64 v[0:1], v[0:1], 2, v[12:13]
	s_delay_alu instid0(VALU_DEP_1) | instskip(SKIP_4) | instid1(SALU_CYCLE_1)
	v_add_nc_u64_e32 v[4:5], v[0:1], v[4:5]
	v_add_nc_u64_e32 v[0:1], s[4:5], v[2:3]
	s_wait_xcnt 0x0
	v_add_nc_u64_e32 v[2:3], -1, v[6:7]
	s_lshl_b64 s[4:5], s[16:17], 2
	s_sub_nc_u64 s[0:1], s[4:5], s[0:1]
	s_delay_alu instid0(VALU_DEP_3)
	v_add_nc_u64_e32 v[4:5], s[6:7], v[4:5]
.LBB6_98:                               ; =>This Inner Loop Header: Depth=1
	global_load_b32 v6, v[4:5], off
	v_add_nc_u64_e32 v[2:3], 1, v[2:3]
	s_wait_xcnt 0x0
	v_add_nc_u64_e32 v[4:5], s[0:1], v[4:5]
	s_delay_alu instid0(VALU_DEP_2)
	v_cmp_ge_i64_e32 vcc_lo, v[2:3], v[8:9]
	s_or_b32 s2, vcc_lo, s2
	s_wait_loadcnt 0x0
	v_add_f32_e32 v10, v10, v6
	global_store_b32 v[0:1], v10, off
	s_wait_xcnt 0x0
	s_and_not1_b32 exec_lo, exec_lo, s2
	s_cbranch_execnz .LBB6_98
.LBB6_99:
	s_endpgm
	.section	.rodata,"a",@progbits
	.p2align	6, 0x0
	.amdhsa_kernel _ZN2at6native12_GLOBAL__N_135_unfold_backward_elementwise_kernelILi256ELi4EZNS1_32_unfold_backward_internal_kernelIfEEvRNS_14TensorIteratorEllllllEUliE_EEviT1_
		.amdhsa_group_segment_fixed_size 0
		.amdhsa_private_segment_fixed_size 0
		.amdhsa_kernarg_size 464
		.amdhsa_user_sgpr_count 2
		.amdhsa_user_sgpr_dispatch_ptr 0
		.amdhsa_user_sgpr_queue_ptr 0
		.amdhsa_user_sgpr_kernarg_segment_ptr 1
		.amdhsa_user_sgpr_dispatch_id 0
		.amdhsa_user_sgpr_kernarg_preload_length 0
		.amdhsa_user_sgpr_kernarg_preload_offset 0
		.amdhsa_user_sgpr_private_segment_size 0
		.amdhsa_wavefront_size32 1
		.amdhsa_uses_dynamic_stack 0
		.amdhsa_enable_private_segment 0
		.amdhsa_system_sgpr_workgroup_id_x 1
		.amdhsa_system_sgpr_workgroup_id_y 0
		.amdhsa_system_sgpr_workgroup_id_z 0
		.amdhsa_system_sgpr_workgroup_info 0
		.amdhsa_system_vgpr_workitem_id 0
		.amdhsa_next_free_vgpr 28
		.amdhsa_next_free_sgpr 56
		.amdhsa_named_barrier_count 0
		.amdhsa_reserve_vcc 1
		.amdhsa_float_round_mode_32 0
		.amdhsa_float_round_mode_16_64 0
		.amdhsa_float_denorm_mode_32 3
		.amdhsa_float_denorm_mode_16_64 3
		.amdhsa_fp16_overflow 0
		.amdhsa_memory_ordered 1
		.amdhsa_forward_progress 1
		.amdhsa_inst_pref_size 76
		.amdhsa_round_robin_scheduling 0
		.amdhsa_exception_fp_ieee_invalid_op 0
		.amdhsa_exception_fp_denorm_src 0
		.amdhsa_exception_fp_ieee_div_zero 0
		.amdhsa_exception_fp_ieee_overflow 0
		.amdhsa_exception_fp_ieee_underflow 0
		.amdhsa_exception_fp_ieee_inexact 0
		.amdhsa_exception_int_div_zero 0
	.end_amdhsa_kernel
	.section	.text._ZN2at6native12_GLOBAL__N_135_unfold_backward_elementwise_kernelILi256ELi4EZNS1_32_unfold_backward_internal_kernelIfEEvRNS_14TensorIteratorEllllllEUliE_EEviT1_,"axG",@progbits,_ZN2at6native12_GLOBAL__N_135_unfold_backward_elementwise_kernelILi256ELi4EZNS1_32_unfold_backward_internal_kernelIfEEvRNS_14TensorIteratorEllllllEUliE_EEviT1_,comdat
.Lfunc_end6:
	.size	_ZN2at6native12_GLOBAL__N_135_unfold_backward_elementwise_kernelILi256ELi4EZNS1_32_unfold_backward_internal_kernelIfEEvRNS_14TensorIteratorEllllllEUliE_EEviT1_, .Lfunc_end6-_ZN2at6native12_GLOBAL__N_135_unfold_backward_elementwise_kernelILi256ELi4EZNS1_32_unfold_backward_internal_kernelIfEEvRNS_14TensorIteratorEllllllEUliE_EEviT1_
                                        ; -- End function
	.set _ZN2at6native12_GLOBAL__N_135_unfold_backward_elementwise_kernelILi256ELi4EZNS1_32_unfold_backward_internal_kernelIfEEvRNS_14TensorIteratorEllllllEUliE_EEviT1_.num_vgpr, 28
	.set _ZN2at6native12_GLOBAL__N_135_unfold_backward_elementwise_kernelILi256ELi4EZNS1_32_unfold_backward_internal_kernelIfEEvRNS_14TensorIteratorEllllllEUliE_EEviT1_.num_agpr, 0
	.set _ZN2at6native12_GLOBAL__N_135_unfold_backward_elementwise_kernelILi256ELi4EZNS1_32_unfold_backward_internal_kernelIfEEvRNS_14TensorIteratorEllllllEUliE_EEviT1_.numbered_sgpr, 56
	.set _ZN2at6native12_GLOBAL__N_135_unfold_backward_elementwise_kernelILi256ELi4EZNS1_32_unfold_backward_internal_kernelIfEEvRNS_14TensorIteratorEllllllEUliE_EEviT1_.num_named_barrier, 0
	.set _ZN2at6native12_GLOBAL__N_135_unfold_backward_elementwise_kernelILi256ELi4EZNS1_32_unfold_backward_internal_kernelIfEEvRNS_14TensorIteratorEllllllEUliE_EEviT1_.private_seg_size, 0
	.set _ZN2at6native12_GLOBAL__N_135_unfold_backward_elementwise_kernelILi256ELi4EZNS1_32_unfold_backward_internal_kernelIfEEvRNS_14TensorIteratorEllllllEUliE_EEviT1_.uses_vcc, 1
	.set _ZN2at6native12_GLOBAL__N_135_unfold_backward_elementwise_kernelILi256ELi4EZNS1_32_unfold_backward_internal_kernelIfEEvRNS_14TensorIteratorEllllllEUliE_EEviT1_.uses_flat_scratch, 0
	.set _ZN2at6native12_GLOBAL__N_135_unfold_backward_elementwise_kernelILi256ELi4EZNS1_32_unfold_backward_internal_kernelIfEEvRNS_14TensorIteratorEllllllEUliE_EEviT1_.has_dyn_sized_stack, 0
	.set _ZN2at6native12_GLOBAL__N_135_unfold_backward_elementwise_kernelILi256ELi4EZNS1_32_unfold_backward_internal_kernelIfEEvRNS_14TensorIteratorEllllllEUliE_EEviT1_.has_recursion, 0
	.set _ZN2at6native12_GLOBAL__N_135_unfold_backward_elementwise_kernelILi256ELi4EZNS1_32_unfold_backward_internal_kernelIfEEvRNS_14TensorIteratorEllllllEUliE_EEviT1_.has_indirect_call, 0
	.section	.AMDGPU.csdata,"",@progbits
; Kernel info:
; codeLenInByte = 9716
; TotalNumSgprs: 58
; NumVgprs: 28
; ScratchSize: 0
; MemoryBound: 0
; FloatMode: 240
; IeeeMode: 1
; LDSByteSize: 0 bytes/workgroup (compile time only)
; SGPRBlocks: 0
; VGPRBlocks: 1
; NumSGPRsForWavesPerEU: 58
; NumVGPRsForWavesPerEU: 28
; NamedBarCnt: 0
; Occupancy: 16
; WaveLimiterHint : 1
; COMPUTE_PGM_RSRC2:SCRATCH_EN: 0
; COMPUTE_PGM_RSRC2:USER_SGPR: 2
; COMPUTE_PGM_RSRC2:TRAP_HANDLER: 0
; COMPUTE_PGM_RSRC2:TGID_X_EN: 1
; COMPUTE_PGM_RSRC2:TGID_Y_EN: 0
; COMPUTE_PGM_RSRC2:TGID_Z_EN: 0
; COMPUTE_PGM_RSRC2:TIDIG_COMP_CNT: 0
	.section	.text._ZN2at6native12_GLOBAL__N_135_unfold_backward_elementwise_kernelILi256ELi4EZNS1_32_unfold_backward_internal_kernelIN3c107complexIdEEEEvRNS_14TensorIteratorEllllllEUliE_EEviT1_,"axG",@progbits,_ZN2at6native12_GLOBAL__N_135_unfold_backward_elementwise_kernelILi256ELi4EZNS1_32_unfold_backward_internal_kernelIN3c107complexIdEEEEvRNS_14TensorIteratorEllllllEUliE_EEviT1_,comdat
	.globl	_ZN2at6native12_GLOBAL__N_135_unfold_backward_elementwise_kernelILi256ELi4EZNS1_32_unfold_backward_internal_kernelIN3c107complexIdEEEEvRNS_14TensorIteratorEllllllEUliE_EEviT1_ ; -- Begin function _ZN2at6native12_GLOBAL__N_135_unfold_backward_elementwise_kernelILi256ELi4EZNS1_32_unfold_backward_internal_kernelIN3c107complexIdEEEEvRNS_14TensorIteratorEllllllEUliE_EEviT1_
	.p2align	8
	.type	_ZN2at6native12_GLOBAL__N_135_unfold_backward_elementwise_kernelILi256ELi4EZNS1_32_unfold_backward_internal_kernelIN3c107complexIdEEEEvRNS_14TensorIteratorEllllllEUliE_EEviT1_,@function
_ZN2at6native12_GLOBAL__N_135_unfold_backward_elementwise_kernelILi256ELi4EZNS1_32_unfold_backward_internal_kernelIN3c107complexIdEEEEvRNS_14TensorIteratorEllllllEUliE_EEviT1_: ; @_ZN2at6native12_GLOBAL__N_135_unfold_backward_elementwise_kernelILi256ELi4EZNS1_32_unfold_backward_internal_kernelIN3c107complexIdEEEEvRNS_14TensorIteratorEllllllEUliE_EEviT1_
; %bb.0:
	s_clause 0x2
	s_load_b128 s[20:23], s[0:1], 0x8
	s_load_b32 s31, s[0:1], 0x0
	s_load_b512 s[4:19], s[0:1], 0x190
	s_bfe_u32 s3, ttmp6, 0x4000c
	s_clause 0x2
	s_load_b96 s[28:30], s[0:1], 0x18
	s_load_b128 s[24:27], s[0:1], 0xcc
	s_load_b64 s[34:35], s[0:1], 0xdc
	s_add_co_i32 s3, s3, 1
	s_and_b32 s2, ttmp6, 15
	s_mul_i32 s3, ttmp9, s3
	s_getreg_b32 s33, hwreg(HW_REG_IB_STS2, 6, 4)
	s_add_co_i32 s2, s2, s3
	s_add_nc_u64 s[40:41], s[0:1], 8
	s_cmp_eq_u32 s33, 0
	s_mov_b32 s37, 0
	s_cselect_b32 s2, ttmp9, s2
	s_mov_b32 s42, -1
	v_lshl_or_b32 v4, s2, 10, v0
	s_mov_b32 s39, s37
	s_wait_kmcnt 0x0
	v_sub_co_u32 v1, s3, s20, 1
	s_mov_b32 s36, s22
	s_xor_b32 s33, s3, -1
	s_mov_b32 s38, s29
	v_readfirstlane_b32 s1, v1
	v_cmp_lt_u32_e32 vcc_lo, 1, v1
	s_add_nc_u64 s[2:3], s[14:15], -1
	s_mov_b32 s29, exec_lo
	s_min_u32 s22, s1, 15
	v_cndmask_b32_e64 v16, 0, 1, vcc_lo
	s_cmp_gt_u32 s20, 1
	s_cselect_b32 s20, -1, 0
	v_cmpx_gt_i32_e64 s31, v4
	s_cbranch_execnz .LBB7_4
; %bb.1:
	s_or_b32 exec_lo, exec_lo, s29
	s_delay_alu instid0(SALU_CYCLE_1)
	s_mov_b32 s29, exec_lo
	v_cmpx_gt_i32_e64 s31, v4
	s_cbranch_execnz .LBB7_28
.LBB7_2:
	s_or_b32 exec_lo, exec_lo, s29
	s_delay_alu instid0(SALU_CYCLE_1)
	s_mov_b32 s29, exec_lo
	v_cmpx_gt_i32_e64 s31, v4
	s_cbranch_execnz .LBB7_52
.LBB7_3:
	s_or_b32 exec_lo, exec_lo, s29
	s_delay_alu instid0(SALU_CYCLE_1)
	s_mov_b32 s0, exec_lo
	v_cmpx_gt_i32_e64 s31, v4
	s_cbranch_execnz .LBB7_76
	s_branch .LBB7_99
.LBB7_4:
	s_and_not1_b32 vcc_lo, exec_lo, vcc_lo
                                        ; implicit-def: $vgpr2
                                        ; implicit-def: $vgpr8
                                        ; implicit-def: $vgpr6
	s_cbranch_vccnz .LBB7_11
; %bb.5:
	v_dual_mov_b32 v2, 0 :: v_dual_mov_b32 v8, 0
	v_mov_b32_e32 v6, 0
	s_and_not1_b32 vcc_lo, exec_lo, s33
	s_cbranch_vccnz .LBB7_10
; %bb.6:
	v_dual_mov_b32 v6, 0 :: v_dual_mov_b32 v0, v4
	v_dual_mov_b32 v8, 0 :: v_dual_mov_b32 v2, 0
	s_add_co_i32 s14, s22, 1
	s_mov_b64 s[0:1], 0xffffffffffffffe8
	s_and_b32 s14, s14, 30
	s_add_nc_u64 s[0:1], s[40:41], s[0:1]
.LBB7_7:                                ; =>This Inner Loop Header: Depth=1
	s_clause 0x1
	s_load_b128 s[44:47], s[0:1], 0x1c
	s_load_b64 s[42:43], s[0:1], 0x2c
	s_add_co_i32 s14, s14, -2
	s_delay_alu instid0(SALU_CYCLE_1) | instskip(SKIP_2) | instid1(VALU_DEP_1)
	s_cmp_lg_u32 s14, 0
	s_wait_kmcnt 0x0
	v_mul_hi_u32 v1, s45, v0
	v_add_nc_u32_e32 v1, v0, v1
	s_delay_alu instid0(VALU_DEP_1) | instskip(NEXT) | instid1(VALU_DEP_1)
	v_lshrrev_b32_e32 v1, s46, v1
	v_mul_hi_u32 v3, s42, v1
	v_mul_lo_u32 v5, v1, s44
	s_clause 0x1
	s_load_b128 s[48:51], s[0:1], 0xdc
	s_load_b64 s[44:45], s[0:1], 0xec
	s_wait_xcnt 0x0
	s_add_nc_u64 s[0:1], s[0:1], 24
	s_delay_alu instid0(VALU_DEP_1) | instskip(NEXT) | instid1(VALU_DEP_1)
	v_dual_add_nc_u32 v3, v1, v3 :: v_dual_sub_nc_u32 v5, v0, v5
	v_lshrrev_b32_e32 v0, s43, v3
	s_wait_kmcnt 0x0
	s_delay_alu instid0(VALU_DEP_2) | instskip(NEXT) | instid1(VALU_DEP_2)
	v_mad_u32 v6, v5, s48, v6
	v_mul_lo_u32 v3, v0, s47
	v_mad_u32 v2, v5, s50, v2
	v_mad_u32 v5, v5, s49, v8
	s_delay_alu instid0(VALU_DEP_3) | instskip(NEXT) | instid1(VALU_DEP_1)
	v_sub_nc_u32_e32 v1, v1, v3
	v_mad_u32 v6, v1, s51, v6
	s_delay_alu instid0(VALU_DEP_4) | instskip(NEXT) | instid1(VALU_DEP_4)
	v_mad_u32 v2, v1, s45, v2
	v_mad_u32 v8, v1, s44, v5
	s_cbranch_scc1 .LBB7_7
; %bb.8:
	s_bitcmp1_b32 s22, 0
	s_cselect_b32 s14, -1, 0
	s_delay_alu instid0(SALU_CYCLE_1)
	s_and_b32 vcc_lo, exec_lo, s14
	s_cbranch_vccnz .LBB7_10
; %bb.9:
	s_clause 0x1
	s_load_b96 s[44:46], s[0:1], 0x1c
	s_load_b96 s[48:50], s[0:1], 0xdc
	s_wait_kmcnt 0x0
	v_mul_hi_u32 v1, s45, v0
	s_delay_alu instid0(VALU_DEP_1) | instskip(NEXT) | instid1(VALU_DEP_1)
	v_add_nc_u32_e32 v1, v0, v1
	v_lshrrev_b32_e32 v1, s46, v1
	s_delay_alu instid0(VALU_DEP_1) | instskip(NEXT) | instid1(VALU_DEP_1)
	v_mul_lo_u32 v1, v1, s44
	v_sub_nc_u32_e32 v0, v0, v1
	s_delay_alu instid0(VALU_DEP_1)
	v_mad_u32 v6, v0, s48, v6
	v_mad_u32 v8, v0, s49, v8
	;; [unrolled: 1-line block ×3, first 2 shown]
.LBB7_10:
	s_mov_b32 s42, 0
.LBB7_11:
	s_delay_alu instid0(SALU_CYCLE_1)
	s_and_not1_b32 vcc_lo, exec_lo, s42
	s_cbranch_vccnz .LBB7_14
; %bb.12:
	v_mov_b32_e32 v5, 0
	s_and_not1_b32 vcc_lo, exec_lo, s20
	s_delay_alu instid0(VALU_DEP_1) | instskip(NEXT) | instid1(VALU_DEP_1)
	v_mul_u64_e32 v[0:1], s[36:37], v[4:5]
	v_add_nc_u32_e32 v0, v4, v1
	s_delay_alu instid0(VALU_DEP_1) | instskip(NEXT) | instid1(VALU_DEP_1)
	v_lshrrev_b32_e32 v0, s23, v0
	v_mul_lo_u32 v1, v0, s21
	s_delay_alu instid0(VALU_DEP_1) | instskip(NEXT) | instid1(VALU_DEP_1)
	v_sub_nc_u32_e32 v1, v4, v1
	v_mul_lo_u32 v6, v1, s24
	v_mul_lo_u32 v2, v1, s26
	v_mul_lo_u32 v8, v1, s25
	s_cbranch_vccnz .LBB7_14
; %bb.13:
	v_mov_b32_e32 v1, v5
	s_delay_alu instid0(VALU_DEP_1) | instskip(NEXT) | instid1(VALU_DEP_1)
	v_mul_u64_e32 v[10:11], s[38:39], v[0:1]
	v_add_nc_u32_e32 v1, v0, v11
	s_delay_alu instid0(VALU_DEP_1) | instskip(NEXT) | instid1(VALU_DEP_1)
	v_lshrrev_b32_e32 v1, s30, v1
	v_mul_lo_u32 v1, v1, s28
	s_delay_alu instid0(VALU_DEP_1) | instskip(NEXT) | instid1(VALU_DEP_1)
	v_sub_nc_u32_e32 v0, v0, v1
	v_mad_u32 v6, v0, s27, v6
	v_mad_u32 v8, v0, s34, v8
	;; [unrolled: 1-line block ×3, first 2 shown]
.LBB7_14:
	global_load_b64 v[10:11], v2, s[8:9]
	v_mov_b64_e32 v[0:1], 0
	s_mov_b32 s1, exec_lo
	s_wait_loadcnt 0x0
	v_cmpx_lt_i64_e64 s[10:11], v[10:11]
	s_cbranch_execz .LBB7_20
; %bb.15:
	v_sub_nc_u64_e64 v[12:13], v[10:11], s[10:11]
                                        ; implicit-def: $vgpr0_vgpr1
	s_mov_b32 s0, exec_lo
	s_delay_alu instid0(VALU_DEP_1) | instskip(NEXT) | instid1(VALU_DEP_1)
	v_dual_mov_b32 v2, 0 :: v_dual_bitop2_b32 v3, s13, v13 bitop3:0x54
	v_cmpx_ne_u64_e32 0, v[2:3]
	s_xor_b32 s44, exec_lo, s0
	s_cbranch_execz .LBB7_17
; %bb.16:
	s_ashr_i32 s14, s13, 31
	s_mov_b32 s53, 0
	s_mov_b32 s15, s14
	v_dual_mov_b32 v15, v2 :: v_dual_ashrrev_i32 v0, 31, v13
	s_add_nc_u64 s[42:43], s[12:13], s[14:15]
	v_mov_b32_e32 v19, v2
	s_xor_b64 s[42:43], s[42:43], s[14:15]
	s_delay_alu instid0(VALU_DEP_2)
	v_mov_b32_e32 v1, v0
	s_cvt_f32_u32 s0, s42
	s_cvt_f32_u32 s15, s43
	s_sub_nc_u64 s[48:49], 0, s[42:43]
	v_mov_b32_e32 v25, v2
	v_add_nc_u64_e32 v[12:13], v[12:13], v[0:1]
	s_fmamk_f32 s0, s15, 0x4f800000, s0
	v_mov_b32_e32 v3, v2
	s_delay_alu instid0(SALU_CYCLE_2) | instskip(NEXT) | instid1(VALU_DEP_2)
	v_s_rcp_f32 s0, s0
	v_xor_b32_e32 v14, v12, v0
	s_delay_alu instid0(VALU_DEP_3) | instskip(SKIP_1) | instid1(TRANS32_DEP_1)
	v_xor_b32_e32 v18, v13, v0
	v_xor_b32_e32 v0, s14, v0
	s_mul_f32 s0, s0, 0x5f7ffffc
	s_delay_alu instid0(SALU_CYCLE_3) | instskip(NEXT) | instid1(SALU_CYCLE_3)
	s_mul_f32 s15, s0, 0x2f800000
	s_trunc_f32 s15, s15
	s_delay_alu instid0(SALU_CYCLE_3) | instskip(SKIP_1) | instid1(SALU_CYCLE_2)
	s_fmamk_f32 s0, s15, 0xcf800000, s0
	s_cvt_u32_f32 s47, s15
	s_cvt_u32_f32 s46, s0
	s_delay_alu instid0(SALU_CYCLE_3) | instskip(NEXT) | instid1(SALU_CYCLE_1)
	s_mul_u64 s[50:51], s[48:49], s[46:47]
	s_mul_hi_u32 s55, s46, s51
	s_mul_i32 s54, s46, s51
	s_mul_hi_u32 s52, s46, s50
	s_mul_i32 s15, s47, s50
	s_add_nc_u64 s[54:55], s[52:53], s[54:55]
	s_mul_hi_u32 s0, s47, s50
	s_mul_hi_u32 s45, s47, s51
	s_add_co_u32 s15, s54, s15
	s_add_co_ci_u32 s52, s55, s0
	s_mul_i32 s50, s47, s51
	s_add_co_ci_u32 s51, s45, 0
	s_delay_alu instid0(SALU_CYCLE_1) | instskip(NEXT) | instid1(SALU_CYCLE_1)
	s_add_nc_u64 s[50:51], s[52:53], s[50:51]
	s_add_co_u32 s46, s46, s50
	s_cselect_b32 s0, -1, 0
	s_delay_alu instid0(SALU_CYCLE_1) | instskip(SKIP_1) | instid1(SALU_CYCLE_1)
	s_cmp_lg_u32 s0, 0
	s_add_co_ci_u32 s47, s47, s51
	s_mul_u64 s[48:49], s[48:49], s[46:47]
	s_delay_alu instid0(SALU_CYCLE_1)
	s_mul_hi_u32 s51, s46, s49
	s_mul_i32 s50, s46, s49
	s_mul_hi_u32 s52, s46, s48
	s_mul_i32 s15, s47, s48
	s_add_nc_u64 s[50:51], s[52:53], s[50:51]
	s_mul_hi_u32 s0, s47, s48
	s_mul_hi_u32 s45, s47, s49
	s_add_co_u32 s15, s50, s15
	s_add_co_ci_u32 s52, s51, s0
	s_mul_i32 s48, s47, s49
	s_add_co_ci_u32 s49, s45, 0
	s_delay_alu instid0(SALU_CYCLE_1) | instskip(NEXT) | instid1(SALU_CYCLE_1)
	s_add_nc_u64 s[48:49], s[52:53], s[48:49]
	s_add_co_u32 s0, s46, s48
	s_cselect_b32 s15, -1, 0
	v_mul_hi_u32 v24, v14, s0
	s_cmp_lg_u32 s15, 0
	s_add_co_ci_u32 s52, s47, s49
	s_mov_b64 s[46:47], 0xffffffff
	v_mul_u64_e32 v[20:21], s[52:53], v[14:15]
	s_and_b64 s[46:47], s[0:1], s[46:47]
	v_mul_u64_e32 v[22:23], s[52:53], v[18:19]
	v_mul_u64_e32 v[12:13], s[46:47], v[18:19]
	s_delay_alu instid0(VALU_DEP_3) | instskip(NEXT) | instid1(VALU_DEP_1)
	v_add_nc_u64_e32 v[20:21], v[24:25], v[20:21]
	v_add_co_u32 v1, vcc_lo, v20, v12
	s_delay_alu instid0(VALU_DEP_2) | instskip(SKIP_1) | instid1(VALU_DEP_1)
	v_add_co_ci_u32_e32 v2, vcc_lo, v21, v13, vcc_lo
	v_add_co_ci_u32_e32 v23, vcc_lo, 0, v23, vcc_lo
	v_add_nc_u64_e32 v[2:3], v[2:3], v[22:23]
	s_delay_alu instid0(VALU_DEP_1) | instskip(NEXT) | instid1(VALU_DEP_1)
	v_mul_u64_e32 v[12:13], s[42:43], v[2:3]
	v_sub_nc_u32_e32 v1, v18, v13
	s_delay_alu instid0(VALU_DEP_2) | instskip(NEXT) | instid1(VALU_DEP_1)
	v_sub_co_u32 v5, vcc_lo, v14, v12
	v_sub_co_ci_u32_e64 v9, null, v18, v13, vcc_lo
	s_delay_alu instid0(VALU_DEP_3) | instskip(NEXT) | instid1(VALU_DEP_3)
	v_subrev_co_ci_u32_e64 v1, null, s43, v1, vcc_lo
	v_sub_co_u32 v7, s0, v5, s42
	v_add_nc_u64_e32 v[14:15], 1, v[2:3]
	s_delay_alu instid0(VALU_DEP_3) | instskip(NEXT) | instid1(VALU_DEP_3)
	v_subrev_co_ci_u32_e64 v1, null, 0, v1, s0
	v_cmp_le_u32_e32 vcc_lo, s42, v7
	v_cndmask_b32_e64 v7, 0, -1, vcc_lo
	s_delay_alu instid0(VALU_DEP_3)
	v_cmp_le_u32_e32 vcc_lo, s43, v1
	v_cndmask_b32_e64 v12, 0, -1, vcc_lo
	v_cmp_le_u32_e32 vcc_lo, s42, v5
	v_cndmask_b32_e64 v5, 0, -1, vcc_lo
	;; [unrolled: 2-line block ×3, first 2 shown]
	v_cmp_eq_u32_e32 vcc_lo, s43, v1
	v_cndmask_b32_e32 v1, v12, v7, vcc_lo
	v_cmp_eq_u32_e32 vcc_lo, s43, v9
	v_add_nc_u64_e32 v[12:13], 2, v[2:3]
	v_cndmask_b32_e32 v5, v17, v5, vcc_lo
	s_delay_alu instid0(VALU_DEP_4) | instskip(NEXT) | instid1(VALU_DEP_2)
	v_cmp_ne_u32_e32 vcc_lo, 0, v1
	v_cmp_ne_u32_e64 s0, 0, v5
	s_delay_alu instid0(VALU_DEP_4) | instskip(NEXT) | instid1(VALU_DEP_1)
	v_dual_cndmask_b32 v1, v15, v13, vcc_lo :: v_dual_cndmask_b32 v5, v14, v12, vcc_lo
                                        ; implicit-def: $vgpr12_vgpr13
	v_dual_cndmask_b32 v3, v3, v1, s0 :: v_dual_mov_b32 v1, v0
	s_delay_alu instid0(VALU_DEP_1) | instskip(NEXT) | instid1(VALU_DEP_1)
	v_dual_cndmask_b32 v2, v2, v5, s0 :: v_dual_bitop2_b32 v3, v3, v0 bitop3:0x14
	v_xor_b32_e32 v2, v2, v0
	s_delay_alu instid0(VALU_DEP_1)
	v_sub_nc_u64_e32 v[0:1], v[2:3], v[0:1]
.LBB7_17:
	s_and_not1_saveexec_b32 s0, s44
	s_cbranch_execz .LBB7_19
; %bb.18:
	v_cvt_f32_u32_e32 v0, s12
	s_sub_co_i32 s14, 0, s12
	s_delay_alu instid0(VALU_DEP_1) | instskip(SKIP_1) | instid1(TRANS32_DEP_1)
	v_rcp_iflag_f32_e32 v0, v0
	v_nop
	v_mul_f32_e32 v0, 0x4f7ffffe, v0
	s_delay_alu instid0(VALU_DEP_1) | instskip(NEXT) | instid1(VALU_DEP_1)
	v_cvt_u32_f32_e32 v0, v0
	v_mul_lo_u32 v1, s14, v0
	s_delay_alu instid0(VALU_DEP_1) | instskip(NEXT) | instid1(VALU_DEP_1)
	v_mul_hi_u32 v1, v0, v1
	v_add_nc_u32_e32 v0, v0, v1
	s_delay_alu instid0(VALU_DEP_1) | instskip(NEXT) | instid1(VALU_DEP_1)
	v_mul_hi_u32 v0, v12, v0
	v_mul_lo_u32 v1, v0, s12
	s_delay_alu instid0(VALU_DEP_1) | instskip(NEXT) | instid1(VALU_DEP_1)
	v_dual_add_nc_u32 v2, 1, v0 :: v_dual_sub_nc_u32 v1, v12, v1
	v_subrev_nc_u32_e32 v3, s12, v1
	v_cmp_le_u32_e32 vcc_lo, s12, v1
	s_delay_alu instid0(VALU_DEP_2) | instskip(NEXT) | instid1(VALU_DEP_1)
	v_dual_cndmask_b32 v1, v1, v3 :: v_dual_cndmask_b32 v0, v0, v2
	v_cmp_le_u32_e32 vcc_lo, s12, v1
	s_delay_alu instid0(VALU_DEP_2) | instskip(NEXT) | instid1(VALU_DEP_1)
	v_dual_mov_b32 v1, 0 :: v_dual_add_nc_u32 v2, 1, v0
	v_cndmask_b32_e32 v0, v0, v2, vcc_lo
.LBB7_19:
	s_or_b32 exec_lo, exec_lo, s0
.LBB7_20:
	s_delay_alu instid0(SALU_CYCLE_1) | instskip(SKIP_2) | instid1(VALU_DEP_1)
	s_or_b32 exec_lo, exec_lo, s1
	v_dual_mov_b32 v2, 0 :: v_dual_bitop2_b32 v3, s13, v11 bitop3:0x54
                                        ; implicit-def: $vgpr12_vgpr13
	s_mov_b32 s0, exec_lo
	v_cmpx_ne_u64_e32 0, v[2:3]
	s_xor_b32 s1, exec_lo, s0
	s_cbranch_execz .LBB7_22
; %bb.21:
	s_ashr_i32 s14, s13, 31
	s_mov_b32 s51, 0
	s_mov_b32 s15, s14
	v_dual_mov_b32 v19, v2 :: v_dual_ashrrev_i32 v12, 31, v11
	s_add_nc_u64 s[42:43], s[12:13], s[14:15]
	v_dual_mov_b32 v27, v2 :: v_dual_mov_b32 v3, v2
	s_xor_b64 s[42:43], s[42:43], s[14:15]
	s_delay_alu instid0(VALU_DEP_2) | instskip(SKIP_3) | instid1(VALU_DEP_1)
	v_mov_b32_e32 v13, v12
	s_cvt_f32_u32 s0, s42
	s_cvt_f32_u32 s15, s43
	s_sub_nc_u64 s[46:47], 0, s[42:43]
	v_add_nc_u64_e32 v[14:15], v[10:11], v[12:13]
	s_delay_alu instid0(SALU_CYCLE_1) | instskip(SKIP_1) | instid1(SALU_CYCLE_2)
	s_fmamk_f32 s0, s15, 0x4f800000, s0
	v_mov_b32_e32 v21, v2
	v_s_rcp_f32 s0, s0
	s_delay_alu instid0(VALU_DEP_2) | instskip(NEXT) | instid1(VALU_DEP_3)
	v_xor_b32_e32 v18, v14, v12
	v_xor_b32_e32 v20, v15, v12
	;; [unrolled: 1-line block ×3, first 2 shown]
	s_delay_alu instid0(TRANS32_DEP_1) | instskip(NEXT) | instid1(SALU_CYCLE_3)
	s_mul_f32 s0, s0, 0x5f7ffffc
	s_mul_f32 s15, s0, 0x2f800000
	s_delay_alu instid0(SALU_CYCLE_3) | instskip(NEXT) | instid1(SALU_CYCLE_3)
	s_trunc_f32 s15, s15
	s_fmamk_f32 s0, s15, 0xcf800000, s0
	s_cvt_u32_f32 s45, s15
	s_delay_alu instid0(SALU_CYCLE_2) | instskip(NEXT) | instid1(SALU_CYCLE_3)
	s_cvt_u32_f32 s44, s0
	s_mul_u64 s[48:49], s[46:47], s[44:45]
	s_delay_alu instid0(SALU_CYCLE_1)
	s_mul_hi_u32 s53, s44, s49
	s_mul_i32 s52, s44, s49
	s_mul_hi_u32 s50, s44, s48
	s_mul_i32 s15, s45, s48
	s_add_nc_u64 s[52:53], s[50:51], s[52:53]
	s_mul_hi_u32 s0, s45, s48
	s_mul_hi_u32 s54, s45, s49
	s_add_co_u32 s15, s52, s15
	s_add_co_ci_u32 s50, s53, s0
	s_mul_i32 s48, s45, s49
	s_add_co_ci_u32 s49, s54, 0
	s_delay_alu instid0(SALU_CYCLE_1) | instskip(NEXT) | instid1(SALU_CYCLE_1)
	s_add_nc_u64 s[48:49], s[50:51], s[48:49]
	s_add_co_u32 s44, s44, s48
	s_cselect_b32 s0, -1, 0
	s_delay_alu instid0(SALU_CYCLE_1) | instskip(SKIP_1) | instid1(SALU_CYCLE_1)
	s_cmp_lg_u32 s0, 0
	s_add_co_ci_u32 s45, s45, s49
	s_mul_u64 s[46:47], s[46:47], s[44:45]
	s_delay_alu instid0(SALU_CYCLE_1)
	s_mul_hi_u32 s49, s44, s47
	s_mul_i32 s48, s44, s47
	s_mul_hi_u32 s50, s44, s46
	s_mul_i32 s15, s45, s46
	s_add_nc_u64 s[48:49], s[50:51], s[48:49]
	s_mul_hi_u32 s0, s45, s46
	s_mul_hi_u32 s52, s45, s47
	s_add_co_u32 s15, s48, s15
	s_add_co_ci_u32 s50, s49, s0
	s_mul_i32 s46, s45, s47
	s_add_co_ci_u32 s47, s52, 0
	s_delay_alu instid0(SALU_CYCLE_1) | instskip(NEXT) | instid1(SALU_CYCLE_1)
	s_add_nc_u64 s[46:47], s[50:51], s[46:47]
	s_add_co_u32 s0, s44, s46
	s_cselect_b32 s15, -1, 0
	v_mul_hi_u32 v26, v18, s0
	s_cmp_lg_u32 s15, 0
	s_add_co_ci_u32 s50, s45, s47
	s_mov_b64 s[44:45], 0xffffffff
	v_mul_u64_e32 v[22:23], s[50:51], v[18:19]
	s_and_b64 s[44:45], s[0:1], s[44:45]
	v_mul_u64_e32 v[24:25], s[50:51], v[20:21]
	v_mul_u64_e32 v[14:15], s[44:45], v[20:21]
	s_delay_alu instid0(VALU_DEP_3) | instskip(NEXT) | instid1(VALU_DEP_1)
	v_add_nc_u64_e32 v[22:23], v[26:27], v[22:23]
	v_add_co_u32 v2, vcc_lo, v22, v14
	s_delay_alu instid0(VALU_DEP_2) | instskip(SKIP_1) | instid1(VALU_DEP_1)
	v_add_co_ci_u32_e32 v2, vcc_lo, v23, v15, vcc_lo
	v_add_co_ci_u32_e32 v25, vcc_lo, 0, v25, vcc_lo
	v_add_nc_u64_e32 v[2:3], v[2:3], v[24:25]
	s_delay_alu instid0(VALU_DEP_1) | instskip(NEXT) | instid1(VALU_DEP_1)
	v_mul_u64_e32 v[14:15], s[42:43], v[2:3]
	v_sub_co_u32 v7, vcc_lo, v18, v14
	v_add_nc_u64_e32 v[18:19], 1, v[2:3]
	s_delay_alu instid0(VALU_DEP_3) | instskip(SKIP_1) | instid1(VALU_DEP_4)
	v_sub_nc_u32_e32 v5, v20, v15
	v_sub_co_ci_u32_e64 v13, null, v20, v15, vcc_lo
	v_sub_co_u32 v9, s0, v7, s42
	s_delay_alu instid0(VALU_DEP_3) | instskip(NEXT) | instid1(VALU_DEP_2)
	v_subrev_co_ci_u32_e64 v5, null, s43, v5, vcc_lo
	v_cmp_le_u32_e32 vcc_lo, s42, v9
	s_delay_alu instid0(VALU_DEP_2) | instskip(SKIP_1) | instid1(VALU_DEP_2)
	v_subrev_co_ci_u32_e64 v5, null, 0, v5, s0
	v_cndmask_b32_e64 v9, 0, -1, vcc_lo
	v_cmp_le_u32_e32 vcc_lo, s43, v5
	v_cndmask_b32_e64 v14, 0, -1, vcc_lo
	v_cmp_le_u32_e32 vcc_lo, s42, v7
	;; [unrolled: 2-line block ×3, first 2 shown]
	v_cndmask_b32_e64 v17, 0, -1, vcc_lo
	v_cmp_eq_u32_e32 vcc_lo, s43, v5
	v_cndmask_b32_e32 v5, v14, v9, vcc_lo
	v_cmp_eq_u32_e32 vcc_lo, s43, v13
	v_add_nc_u64_e32 v[14:15], 2, v[2:3]
	v_cndmask_b32_e32 v7, v17, v7, vcc_lo
	s_delay_alu instid0(VALU_DEP_4) | instskip(NEXT) | instid1(VALU_DEP_2)
	v_cmp_ne_u32_e32 vcc_lo, 0, v5
	v_cmp_ne_u32_e64 s0, 0, v7
	s_delay_alu instid0(VALU_DEP_4) | instskip(NEXT) | instid1(VALU_DEP_1)
	v_dual_cndmask_b32 v5, v19, v15, vcc_lo :: v_dual_cndmask_b32 v7, v18, v14, vcc_lo
	v_dual_cndmask_b32 v3, v3, v5, s0 :: v_dual_cndmask_b32 v2, v2, v7, s0
	s_delay_alu instid0(VALU_DEP_1) | instskip(NEXT) | instid1(VALU_DEP_2)
	v_dual_mov_b32 v13, v12 :: v_dual_bitop2_b32 v3, v3, v12 bitop3:0x14
	v_xor_b32_e32 v2, v2, v12
	s_delay_alu instid0(VALU_DEP_1)
	v_sub_nc_u64_e32 v[12:13], v[2:3], v[12:13]
.LBB7_22:
	s_and_not1_saveexec_b32 s0, s1
	s_cbranch_execz .LBB7_24
; %bb.23:
	v_cvt_f32_u32_e32 v2, s12
	s_sub_co_i32 s1, 0, s12
	v_mov_b32_e32 v13, 0
	s_delay_alu instid0(VALU_DEP_2) | instskip(SKIP_1) | instid1(TRANS32_DEP_1)
	v_rcp_iflag_f32_e32 v2, v2
	v_nop
	v_mul_f32_e32 v2, 0x4f7ffffe, v2
	s_delay_alu instid0(VALU_DEP_1) | instskip(NEXT) | instid1(VALU_DEP_1)
	v_cvt_u32_f32_e32 v2, v2
	v_mul_lo_u32 v3, s1, v2
	s_delay_alu instid0(VALU_DEP_1) | instskip(NEXT) | instid1(VALU_DEP_1)
	v_mul_hi_u32 v3, v2, v3
	v_add_nc_u32_e32 v2, v2, v3
	s_delay_alu instid0(VALU_DEP_1) | instskip(NEXT) | instid1(VALU_DEP_1)
	v_mul_hi_u32 v2, v10, v2
	v_mul_lo_u32 v3, v2, s12
	s_delay_alu instid0(VALU_DEP_1) | instskip(NEXT) | instid1(VALU_DEP_1)
	v_sub_nc_u32_e32 v3, v10, v3
	v_subrev_nc_u32_e32 v7, s12, v3
	v_cmp_le_u32_e32 vcc_lo, s12, v3
	s_delay_alu instid0(VALU_DEP_2) | instskip(NEXT) | instid1(VALU_DEP_1)
	v_dual_add_nc_u32 v5, 1, v2 :: v_dual_cndmask_b32 v3, v3, v7, vcc_lo
	v_cndmask_b32_e32 v2, v2, v5, vcc_lo
	s_delay_alu instid0(VALU_DEP_2) | instskip(NEXT) | instid1(VALU_DEP_2)
	v_cmp_le_u32_e32 vcc_lo, s12, v3
	v_add_nc_u32_e32 v5, 1, v2
	s_delay_alu instid0(VALU_DEP_1)
	v_cndmask_b32_e32 v12, v2, v5, vcc_lo
.LBB7_24:
	s_or_b32 exec_lo, exec_lo, s0
	v_mul_u64_e32 v[2:3], s[12:13], v[0:1]
	s_delay_alu instid0(VALU_DEP_2) | instskip(SKIP_2) | instid1(VALU_DEP_2)
	v_min_i64 v[12:13], v[12:13], s[2:3]
	s_mov_b32 s14, 0
	s_mov_b32 s15, exec_lo
	v_add_nc_u64_e32 v[14:15], s[10:11], v[2:3]
	v_cmp_gt_i64_e32 vcc_lo, v[2:3], v[10:11]
	v_mov_b32_e32 v3, s14
	s_delay_alu instid0(VALU_DEP_3) | instskip(SKIP_1) | instid1(SALU_CYCLE_1)
	v_cmp_ge_i64_e64 s0, v[10:11], v[14:15]
	s_or_b32 s0, vcc_lo, s0
	v_cndmask_b32_e64 v2, 0, 1, s0
	s_delay_alu instid0(VALU_DEP_1) | instskip(NEXT) | instid1(VALU_DEP_1)
	v_add_nc_u64_e32 v[14:15], v[0:1], v[2:3]
	v_cmpx_le_i64_e64 v[14:15], v[12:13]
	s_cbranch_execz .LBB7_27
; %bb.25:
	global_load_b128 v[0:3], v6, s[4:5]
	v_mul_u64_e32 v[18:19], s[12:13], v[14:15]
	v_mov_b32_e32 v7, 0
	s_mul_u64 s[0:1], s[12:13], s[18:19]
	s_lshl_b64 s[42:43], s[16:17], 4
	s_lshl_b64 s[0:1], s[0:1], 4
	s_delay_alu instid0(VALU_DEP_1) | instskip(SKIP_3) | instid1(VALU_DEP_4)
	v_mov_b32_e32 v9, v7
	s_wait_xcnt 0x0
	v_add_nc_u64_e32 v[6:7], s[4:5], v[6:7]
	s_sub_nc_u64 s[0:1], s[42:43], s[0:1]
	v_sub_nc_u64_e32 v[10:11], v[10:11], v[18:19]
	v_mul_u64_e32 v[18:19], s[16:17], v[14:15]
	s_delay_alu instid0(VALU_DEP_2) | instskip(NEXT) | instid1(VALU_DEP_2)
	v_mul_u64_e32 v[10:11], s[18:19], v[10:11]
	v_lshlrev_b64_e32 v[18:19], 4, v[18:19]
	s_delay_alu instid0(VALU_DEP_1) | instskip(NEXT) | instid1(VALU_DEP_1)
	v_lshl_add_u64 v[10:11], v[10:11], 4, v[18:19]
	v_add_nc_u64_e32 v[8:9], v[10:11], v[8:9]
	s_delay_alu instid0(VALU_DEP_1) | instskip(SKIP_1) | instid1(VALU_DEP_2)
	v_add_nc_u64_e32 v[10:11], s[6:7], v[8:9]
	v_add_nc_u64_e32 v[8:9], -1, v[14:15]
	v_add_nc_u64_e32 v[10:11], 8, v[10:11]
.LBB7_26:                               ; =>This Inner Loop Header: Depth=1
	global_load_b128 v[18:21], v[10:11], off offset:-8
	v_add_nc_u64_e32 v[8:9], 1, v[8:9]
	s_wait_xcnt 0x0
	v_add_nc_u64_e32 v[10:11], s[0:1], v[10:11]
	s_delay_alu instid0(VALU_DEP_2)
	v_cmp_ge_i64_e32 vcc_lo, v[8:9], v[12:13]
	s_or_b32 s14, vcc_lo, s14
	s_wait_loadcnt 0x0
	v_add_f64_e32 v[0:1], v[0:1], v[18:19]
	v_add_f64_e32 v[2:3], v[2:3], v[20:21]
	global_store_b128 v[6:7], v[0:3], off
	s_wait_xcnt 0x0
	s_and_not1_b32 exec_lo, exec_lo, s14
	s_cbranch_execnz .LBB7_26
.LBB7_27:
	s_or_b32 exec_lo, exec_lo, s15
	v_add_nc_u32_e32 v4, 0x100, v4
	s_or_b32 exec_lo, exec_lo, s29
	s_delay_alu instid0(SALU_CYCLE_1) | instskip(NEXT) | instid1(VALU_DEP_1)
	s_mov_b32 s29, exec_lo
	v_cmpx_gt_i32_e64 s31, v4
	s_cbranch_execz .LBB7_2
.LBB7_28:
	v_cmp_ne_u32_e32 vcc_lo, 1, v16
	s_cbranch_vccnz .LBB7_35
; %bb.29:
	v_dual_mov_b32 v2, 0 :: v_dual_mov_b32 v8, 0
	v_mov_b32_e32 v6, 0
	s_and_not1_b32 vcc_lo, exec_lo, s33
	s_cbranch_vccnz .LBB7_34
; %bb.30:
	v_dual_mov_b32 v6, 0 :: v_dual_mov_b32 v0, v4
	v_dual_mov_b32 v8, 0 :: v_dual_mov_b32 v2, 0
	s_add_co_i32 s14, s22, 1
	s_mov_b64 s[0:1], 0xffffffffffffffe8
	s_and_b32 s14, s14, 30
	s_add_nc_u64 s[0:1], s[40:41], s[0:1]
.LBB7_31:                               ; =>This Inner Loop Header: Depth=1
	s_clause 0x1
	s_load_b128 s[44:47], s[0:1], 0x1c
	s_load_b64 s[42:43], s[0:1], 0x2c
	s_add_co_i32 s14, s14, -2
	s_delay_alu instid0(SALU_CYCLE_1) | instskip(SKIP_2) | instid1(VALU_DEP_1)
	s_cmp_eq_u32 s14, 0
	s_wait_kmcnt 0x0
	v_mul_hi_u32 v1, s45, v0
	v_add_nc_u32_e32 v1, v0, v1
	s_delay_alu instid0(VALU_DEP_1) | instskip(NEXT) | instid1(VALU_DEP_1)
	v_lshrrev_b32_e32 v1, s46, v1
	v_mul_hi_u32 v3, s42, v1
	v_mul_lo_u32 v5, v1, s44
	s_clause 0x1
	s_load_b128 s[48:51], s[0:1], 0xdc
	s_load_b64 s[44:45], s[0:1], 0xec
	s_wait_xcnt 0x0
	s_add_nc_u64 s[0:1], s[0:1], 24
	s_delay_alu instid0(VALU_DEP_1) | instskip(NEXT) | instid1(VALU_DEP_1)
	v_dual_add_nc_u32 v3, v1, v3 :: v_dual_sub_nc_u32 v5, v0, v5
	v_lshrrev_b32_e32 v0, s43, v3
	s_wait_kmcnt 0x0
	s_delay_alu instid0(VALU_DEP_2) | instskip(NEXT) | instid1(VALU_DEP_2)
	v_mad_u32 v6, v5, s48, v6
	v_mul_lo_u32 v3, v0, s47
	v_mad_u32 v2, v5, s50, v2
	v_mad_u32 v5, v5, s49, v8
	s_delay_alu instid0(VALU_DEP_3) | instskip(NEXT) | instid1(VALU_DEP_1)
	v_sub_nc_u32_e32 v1, v1, v3
	v_mad_u32 v6, v1, s51, v6
	s_delay_alu instid0(VALU_DEP_4) | instskip(NEXT) | instid1(VALU_DEP_4)
	v_mad_u32 v2, v1, s45, v2
	v_mad_u32 v8, v1, s44, v5
	s_cbranch_scc0 .LBB7_31
; %bb.32:
	s_bitcmp1_b32 s22, 0
	s_cselect_b32 s14, -1, 0
	s_delay_alu instid0(SALU_CYCLE_1)
	s_and_b32 vcc_lo, exec_lo, s14
	s_cbranch_vccnz .LBB7_34
; %bb.33:
	s_clause 0x1
	s_load_b96 s[44:46], s[0:1], 0x1c
	s_load_b96 s[48:50], s[0:1], 0xdc
	s_wait_kmcnt 0x0
	v_mul_hi_u32 v1, s45, v0
	s_delay_alu instid0(VALU_DEP_1) | instskip(NEXT) | instid1(VALU_DEP_1)
	v_add_nc_u32_e32 v1, v0, v1
	v_lshrrev_b32_e32 v1, s46, v1
	s_delay_alu instid0(VALU_DEP_1) | instskip(NEXT) | instid1(VALU_DEP_1)
	v_mul_lo_u32 v1, v1, s44
	v_sub_nc_u32_e32 v0, v0, v1
	s_delay_alu instid0(VALU_DEP_1)
	v_mad_u32 v6, v0, s48, v6
	v_mad_u32 v8, v0, s49, v8
	;; [unrolled: 1-line block ×3, first 2 shown]
.LBB7_34:
	s_cbranch_execz .LBB7_36
	s_branch .LBB7_38
.LBB7_35:
                                        ; implicit-def: $vgpr2
                                        ; implicit-def: $vgpr8
                                        ; implicit-def: $vgpr6
.LBB7_36:
	v_mov_b32_e32 v5, 0
	s_and_not1_b32 vcc_lo, exec_lo, s20
	s_delay_alu instid0(VALU_DEP_1) | instskip(NEXT) | instid1(VALU_DEP_1)
	v_mul_u64_e32 v[0:1], s[36:37], v[4:5]
	v_add_nc_u32_e32 v0, v4, v1
	s_delay_alu instid0(VALU_DEP_1) | instskip(NEXT) | instid1(VALU_DEP_1)
	v_lshrrev_b32_e32 v0, s23, v0
	v_mul_lo_u32 v1, v0, s21
	s_delay_alu instid0(VALU_DEP_1) | instskip(NEXT) | instid1(VALU_DEP_1)
	v_sub_nc_u32_e32 v1, v4, v1
	v_mul_lo_u32 v6, v1, s24
	v_mul_lo_u32 v2, v1, s26
	;; [unrolled: 1-line block ×3, first 2 shown]
	s_cbranch_vccnz .LBB7_38
; %bb.37:
	v_mov_b32_e32 v1, v5
	s_delay_alu instid0(VALU_DEP_1) | instskip(NEXT) | instid1(VALU_DEP_1)
	v_mul_u64_e32 v[10:11], s[38:39], v[0:1]
	v_add_nc_u32_e32 v1, v0, v11
	s_delay_alu instid0(VALU_DEP_1) | instskip(NEXT) | instid1(VALU_DEP_1)
	v_lshrrev_b32_e32 v1, s30, v1
	v_mul_lo_u32 v1, v1, s28
	s_delay_alu instid0(VALU_DEP_1) | instskip(NEXT) | instid1(VALU_DEP_1)
	v_sub_nc_u32_e32 v0, v0, v1
	v_mad_u32 v6, v0, s27, v6
	v_mad_u32 v8, v0, s34, v8
	;; [unrolled: 1-line block ×3, first 2 shown]
.LBB7_38:
	global_load_b64 v[10:11], v2, s[8:9]
	v_mov_b64_e32 v[0:1], 0
	s_mov_b32 s1, exec_lo
	s_wait_loadcnt 0x0
	v_cmpx_lt_i64_e64 s[10:11], v[10:11]
	s_cbranch_execz .LBB7_44
; %bb.39:
	v_sub_nc_u64_e64 v[12:13], v[10:11], s[10:11]
                                        ; implicit-def: $vgpr0_vgpr1
	s_mov_b32 s0, exec_lo
	s_delay_alu instid0(VALU_DEP_1) | instskip(NEXT) | instid1(VALU_DEP_1)
	v_dual_mov_b32 v2, 0 :: v_dual_bitop2_b32 v3, s13, v13 bitop3:0x54
	v_cmpx_ne_u64_e32 0, v[2:3]
	s_xor_b32 s44, exec_lo, s0
	s_cbranch_execz .LBB7_41
; %bb.40:
	s_ashr_i32 s14, s13, 31
	s_mov_b32 s53, 0
	s_mov_b32 s15, s14
	v_dual_mov_b32 v15, v2 :: v_dual_ashrrev_i32 v0, 31, v13
	s_add_nc_u64 s[42:43], s[12:13], s[14:15]
	v_mov_b32_e32 v19, v2
	s_xor_b64 s[42:43], s[42:43], s[14:15]
	s_delay_alu instid0(VALU_DEP_2)
	v_mov_b32_e32 v1, v0
	s_cvt_f32_u32 s0, s42
	s_cvt_f32_u32 s15, s43
	s_sub_nc_u64 s[48:49], 0, s[42:43]
	v_mov_b32_e32 v25, v2
	v_add_nc_u64_e32 v[12:13], v[12:13], v[0:1]
	s_fmamk_f32 s0, s15, 0x4f800000, s0
	v_mov_b32_e32 v3, v2
	s_delay_alu instid0(SALU_CYCLE_2) | instskip(NEXT) | instid1(VALU_DEP_2)
	v_s_rcp_f32 s0, s0
	v_xor_b32_e32 v14, v12, v0
	s_delay_alu instid0(VALU_DEP_3) | instskip(SKIP_1) | instid1(TRANS32_DEP_1)
	v_xor_b32_e32 v18, v13, v0
	v_xor_b32_e32 v0, s14, v0
	s_mul_f32 s0, s0, 0x5f7ffffc
	s_delay_alu instid0(SALU_CYCLE_3) | instskip(NEXT) | instid1(SALU_CYCLE_3)
	s_mul_f32 s15, s0, 0x2f800000
	s_trunc_f32 s15, s15
	s_delay_alu instid0(SALU_CYCLE_3) | instskip(SKIP_1) | instid1(SALU_CYCLE_2)
	s_fmamk_f32 s0, s15, 0xcf800000, s0
	s_cvt_u32_f32 s47, s15
	s_cvt_u32_f32 s46, s0
	s_delay_alu instid0(SALU_CYCLE_3) | instskip(NEXT) | instid1(SALU_CYCLE_1)
	s_mul_u64 s[50:51], s[48:49], s[46:47]
	s_mul_hi_u32 s55, s46, s51
	s_mul_i32 s54, s46, s51
	s_mul_hi_u32 s52, s46, s50
	s_mul_i32 s15, s47, s50
	s_add_nc_u64 s[54:55], s[52:53], s[54:55]
	s_mul_hi_u32 s0, s47, s50
	s_mul_hi_u32 s45, s47, s51
	s_add_co_u32 s15, s54, s15
	s_add_co_ci_u32 s52, s55, s0
	s_mul_i32 s50, s47, s51
	s_add_co_ci_u32 s51, s45, 0
	s_delay_alu instid0(SALU_CYCLE_1) | instskip(NEXT) | instid1(SALU_CYCLE_1)
	s_add_nc_u64 s[50:51], s[52:53], s[50:51]
	s_add_co_u32 s46, s46, s50
	s_cselect_b32 s0, -1, 0
	s_delay_alu instid0(SALU_CYCLE_1) | instskip(SKIP_1) | instid1(SALU_CYCLE_1)
	s_cmp_lg_u32 s0, 0
	s_add_co_ci_u32 s47, s47, s51
	s_mul_u64 s[48:49], s[48:49], s[46:47]
	s_delay_alu instid0(SALU_CYCLE_1)
	s_mul_hi_u32 s51, s46, s49
	s_mul_i32 s50, s46, s49
	s_mul_hi_u32 s52, s46, s48
	s_mul_i32 s15, s47, s48
	s_add_nc_u64 s[50:51], s[52:53], s[50:51]
	s_mul_hi_u32 s0, s47, s48
	s_mul_hi_u32 s45, s47, s49
	s_add_co_u32 s15, s50, s15
	s_add_co_ci_u32 s52, s51, s0
	s_mul_i32 s48, s47, s49
	s_add_co_ci_u32 s49, s45, 0
	s_delay_alu instid0(SALU_CYCLE_1) | instskip(NEXT) | instid1(SALU_CYCLE_1)
	s_add_nc_u64 s[48:49], s[52:53], s[48:49]
	s_add_co_u32 s0, s46, s48
	s_cselect_b32 s15, -1, 0
	v_mul_hi_u32 v24, v14, s0
	s_cmp_lg_u32 s15, 0
	s_add_co_ci_u32 s52, s47, s49
	s_mov_b64 s[46:47], 0xffffffff
	v_mul_u64_e32 v[20:21], s[52:53], v[14:15]
	s_and_b64 s[46:47], s[0:1], s[46:47]
	v_mul_u64_e32 v[22:23], s[52:53], v[18:19]
	v_mul_u64_e32 v[12:13], s[46:47], v[18:19]
	s_delay_alu instid0(VALU_DEP_3) | instskip(NEXT) | instid1(VALU_DEP_1)
	v_add_nc_u64_e32 v[20:21], v[24:25], v[20:21]
	v_add_co_u32 v1, vcc_lo, v20, v12
	s_delay_alu instid0(VALU_DEP_2) | instskip(SKIP_1) | instid1(VALU_DEP_1)
	v_add_co_ci_u32_e32 v2, vcc_lo, v21, v13, vcc_lo
	v_add_co_ci_u32_e32 v23, vcc_lo, 0, v23, vcc_lo
	v_add_nc_u64_e32 v[2:3], v[2:3], v[22:23]
	s_delay_alu instid0(VALU_DEP_1) | instskip(NEXT) | instid1(VALU_DEP_1)
	v_mul_u64_e32 v[12:13], s[42:43], v[2:3]
	v_sub_nc_u32_e32 v1, v18, v13
	s_delay_alu instid0(VALU_DEP_2) | instskip(NEXT) | instid1(VALU_DEP_1)
	v_sub_co_u32 v5, vcc_lo, v14, v12
	v_sub_co_ci_u32_e64 v9, null, v18, v13, vcc_lo
	s_delay_alu instid0(VALU_DEP_3) | instskip(NEXT) | instid1(VALU_DEP_3)
	v_subrev_co_ci_u32_e64 v1, null, s43, v1, vcc_lo
	v_sub_co_u32 v7, s0, v5, s42
	v_add_nc_u64_e32 v[14:15], 1, v[2:3]
	s_delay_alu instid0(VALU_DEP_3) | instskip(NEXT) | instid1(VALU_DEP_3)
	v_subrev_co_ci_u32_e64 v1, null, 0, v1, s0
	v_cmp_le_u32_e32 vcc_lo, s42, v7
	v_cndmask_b32_e64 v7, 0, -1, vcc_lo
	s_delay_alu instid0(VALU_DEP_3)
	v_cmp_le_u32_e32 vcc_lo, s43, v1
	v_cndmask_b32_e64 v12, 0, -1, vcc_lo
	v_cmp_le_u32_e32 vcc_lo, s42, v5
	v_cndmask_b32_e64 v5, 0, -1, vcc_lo
	;; [unrolled: 2-line block ×3, first 2 shown]
	v_cmp_eq_u32_e32 vcc_lo, s43, v1
	v_cndmask_b32_e32 v1, v12, v7, vcc_lo
	v_cmp_eq_u32_e32 vcc_lo, s43, v9
	v_add_nc_u64_e32 v[12:13], 2, v[2:3]
	v_cndmask_b32_e32 v5, v17, v5, vcc_lo
	s_delay_alu instid0(VALU_DEP_4) | instskip(NEXT) | instid1(VALU_DEP_2)
	v_cmp_ne_u32_e32 vcc_lo, 0, v1
	v_cmp_ne_u32_e64 s0, 0, v5
	s_delay_alu instid0(VALU_DEP_4) | instskip(NEXT) | instid1(VALU_DEP_1)
	v_dual_cndmask_b32 v1, v15, v13, vcc_lo :: v_dual_cndmask_b32 v5, v14, v12, vcc_lo
                                        ; implicit-def: $vgpr12_vgpr13
	v_dual_cndmask_b32 v3, v3, v1, s0 :: v_dual_mov_b32 v1, v0
	s_delay_alu instid0(VALU_DEP_1) | instskip(NEXT) | instid1(VALU_DEP_1)
	v_dual_cndmask_b32 v2, v2, v5, s0 :: v_dual_bitop2_b32 v3, v3, v0 bitop3:0x14
	v_xor_b32_e32 v2, v2, v0
	s_delay_alu instid0(VALU_DEP_1)
	v_sub_nc_u64_e32 v[0:1], v[2:3], v[0:1]
.LBB7_41:
	s_and_not1_saveexec_b32 s0, s44
	s_cbranch_execz .LBB7_43
; %bb.42:
	v_cvt_f32_u32_e32 v0, s12
	s_sub_co_i32 s14, 0, s12
	s_delay_alu instid0(VALU_DEP_1) | instskip(SKIP_1) | instid1(TRANS32_DEP_1)
	v_rcp_iflag_f32_e32 v0, v0
	v_nop
	v_mul_f32_e32 v0, 0x4f7ffffe, v0
	s_delay_alu instid0(VALU_DEP_1) | instskip(NEXT) | instid1(VALU_DEP_1)
	v_cvt_u32_f32_e32 v0, v0
	v_mul_lo_u32 v1, s14, v0
	s_delay_alu instid0(VALU_DEP_1) | instskip(NEXT) | instid1(VALU_DEP_1)
	v_mul_hi_u32 v1, v0, v1
	v_add_nc_u32_e32 v0, v0, v1
	s_delay_alu instid0(VALU_DEP_1) | instskip(NEXT) | instid1(VALU_DEP_1)
	v_mul_hi_u32 v0, v12, v0
	v_mul_lo_u32 v1, v0, s12
	s_delay_alu instid0(VALU_DEP_1) | instskip(NEXT) | instid1(VALU_DEP_1)
	v_dual_add_nc_u32 v2, 1, v0 :: v_dual_sub_nc_u32 v1, v12, v1
	v_subrev_nc_u32_e32 v3, s12, v1
	v_cmp_le_u32_e32 vcc_lo, s12, v1
	s_delay_alu instid0(VALU_DEP_2) | instskip(NEXT) | instid1(VALU_DEP_1)
	v_dual_cndmask_b32 v1, v1, v3 :: v_dual_cndmask_b32 v0, v0, v2
	v_cmp_le_u32_e32 vcc_lo, s12, v1
	s_delay_alu instid0(VALU_DEP_2) | instskip(NEXT) | instid1(VALU_DEP_1)
	v_dual_mov_b32 v1, 0 :: v_dual_add_nc_u32 v2, 1, v0
	v_cndmask_b32_e32 v0, v0, v2, vcc_lo
.LBB7_43:
	s_or_b32 exec_lo, exec_lo, s0
.LBB7_44:
	s_delay_alu instid0(SALU_CYCLE_1) | instskip(SKIP_2) | instid1(VALU_DEP_1)
	s_or_b32 exec_lo, exec_lo, s1
	v_dual_mov_b32 v2, 0 :: v_dual_bitop2_b32 v3, s13, v11 bitop3:0x54
                                        ; implicit-def: $vgpr12_vgpr13
	s_mov_b32 s0, exec_lo
	v_cmpx_ne_u64_e32 0, v[2:3]
	s_xor_b32 s1, exec_lo, s0
	s_cbranch_execz .LBB7_46
; %bb.45:
	s_ashr_i32 s14, s13, 31
	s_mov_b32 s51, 0
	s_mov_b32 s15, s14
	v_dual_mov_b32 v19, v2 :: v_dual_ashrrev_i32 v12, 31, v11
	s_add_nc_u64 s[42:43], s[12:13], s[14:15]
	v_dual_mov_b32 v27, v2 :: v_dual_mov_b32 v3, v2
	s_xor_b64 s[42:43], s[42:43], s[14:15]
	s_delay_alu instid0(VALU_DEP_2) | instskip(SKIP_3) | instid1(VALU_DEP_1)
	v_mov_b32_e32 v13, v12
	s_cvt_f32_u32 s0, s42
	s_cvt_f32_u32 s15, s43
	s_sub_nc_u64 s[46:47], 0, s[42:43]
	v_add_nc_u64_e32 v[14:15], v[10:11], v[12:13]
	s_delay_alu instid0(SALU_CYCLE_1) | instskip(SKIP_1) | instid1(SALU_CYCLE_2)
	s_fmamk_f32 s0, s15, 0x4f800000, s0
	v_mov_b32_e32 v21, v2
	v_s_rcp_f32 s0, s0
	s_delay_alu instid0(VALU_DEP_2) | instskip(NEXT) | instid1(VALU_DEP_3)
	v_xor_b32_e32 v18, v14, v12
	v_xor_b32_e32 v20, v15, v12
	;; [unrolled: 1-line block ×3, first 2 shown]
	s_delay_alu instid0(TRANS32_DEP_1) | instskip(NEXT) | instid1(SALU_CYCLE_3)
	s_mul_f32 s0, s0, 0x5f7ffffc
	s_mul_f32 s15, s0, 0x2f800000
	s_delay_alu instid0(SALU_CYCLE_3) | instskip(NEXT) | instid1(SALU_CYCLE_3)
	s_trunc_f32 s15, s15
	s_fmamk_f32 s0, s15, 0xcf800000, s0
	s_cvt_u32_f32 s45, s15
	s_delay_alu instid0(SALU_CYCLE_2) | instskip(NEXT) | instid1(SALU_CYCLE_3)
	s_cvt_u32_f32 s44, s0
	s_mul_u64 s[48:49], s[46:47], s[44:45]
	s_delay_alu instid0(SALU_CYCLE_1)
	s_mul_hi_u32 s53, s44, s49
	s_mul_i32 s52, s44, s49
	s_mul_hi_u32 s50, s44, s48
	s_mul_i32 s15, s45, s48
	s_add_nc_u64 s[52:53], s[50:51], s[52:53]
	s_mul_hi_u32 s0, s45, s48
	s_mul_hi_u32 s54, s45, s49
	s_add_co_u32 s15, s52, s15
	s_add_co_ci_u32 s50, s53, s0
	s_mul_i32 s48, s45, s49
	s_add_co_ci_u32 s49, s54, 0
	s_delay_alu instid0(SALU_CYCLE_1) | instskip(NEXT) | instid1(SALU_CYCLE_1)
	s_add_nc_u64 s[48:49], s[50:51], s[48:49]
	s_add_co_u32 s44, s44, s48
	s_cselect_b32 s0, -1, 0
	s_delay_alu instid0(SALU_CYCLE_1) | instskip(SKIP_1) | instid1(SALU_CYCLE_1)
	s_cmp_lg_u32 s0, 0
	s_add_co_ci_u32 s45, s45, s49
	s_mul_u64 s[46:47], s[46:47], s[44:45]
	s_delay_alu instid0(SALU_CYCLE_1)
	s_mul_hi_u32 s49, s44, s47
	s_mul_i32 s48, s44, s47
	s_mul_hi_u32 s50, s44, s46
	s_mul_i32 s15, s45, s46
	s_add_nc_u64 s[48:49], s[50:51], s[48:49]
	s_mul_hi_u32 s0, s45, s46
	s_mul_hi_u32 s52, s45, s47
	s_add_co_u32 s15, s48, s15
	s_add_co_ci_u32 s50, s49, s0
	s_mul_i32 s46, s45, s47
	s_add_co_ci_u32 s47, s52, 0
	s_delay_alu instid0(SALU_CYCLE_1) | instskip(NEXT) | instid1(SALU_CYCLE_1)
	s_add_nc_u64 s[46:47], s[50:51], s[46:47]
	s_add_co_u32 s0, s44, s46
	s_cselect_b32 s15, -1, 0
	v_mul_hi_u32 v26, v18, s0
	s_cmp_lg_u32 s15, 0
	s_add_co_ci_u32 s50, s45, s47
	s_mov_b64 s[44:45], 0xffffffff
	v_mul_u64_e32 v[22:23], s[50:51], v[18:19]
	s_and_b64 s[44:45], s[0:1], s[44:45]
	v_mul_u64_e32 v[24:25], s[50:51], v[20:21]
	v_mul_u64_e32 v[14:15], s[44:45], v[20:21]
	s_delay_alu instid0(VALU_DEP_3) | instskip(NEXT) | instid1(VALU_DEP_1)
	v_add_nc_u64_e32 v[22:23], v[26:27], v[22:23]
	v_add_co_u32 v2, vcc_lo, v22, v14
	s_delay_alu instid0(VALU_DEP_2) | instskip(SKIP_1) | instid1(VALU_DEP_1)
	v_add_co_ci_u32_e32 v2, vcc_lo, v23, v15, vcc_lo
	v_add_co_ci_u32_e32 v25, vcc_lo, 0, v25, vcc_lo
	v_add_nc_u64_e32 v[2:3], v[2:3], v[24:25]
	s_delay_alu instid0(VALU_DEP_1) | instskip(NEXT) | instid1(VALU_DEP_1)
	v_mul_u64_e32 v[14:15], s[42:43], v[2:3]
	v_sub_co_u32 v7, vcc_lo, v18, v14
	v_add_nc_u64_e32 v[18:19], 1, v[2:3]
	s_delay_alu instid0(VALU_DEP_3) | instskip(SKIP_1) | instid1(VALU_DEP_4)
	v_sub_nc_u32_e32 v5, v20, v15
	v_sub_co_ci_u32_e64 v13, null, v20, v15, vcc_lo
	v_sub_co_u32 v9, s0, v7, s42
	s_delay_alu instid0(VALU_DEP_3) | instskip(NEXT) | instid1(VALU_DEP_2)
	v_subrev_co_ci_u32_e64 v5, null, s43, v5, vcc_lo
	v_cmp_le_u32_e32 vcc_lo, s42, v9
	s_delay_alu instid0(VALU_DEP_2) | instskip(SKIP_1) | instid1(VALU_DEP_2)
	v_subrev_co_ci_u32_e64 v5, null, 0, v5, s0
	v_cndmask_b32_e64 v9, 0, -1, vcc_lo
	v_cmp_le_u32_e32 vcc_lo, s43, v5
	v_cndmask_b32_e64 v14, 0, -1, vcc_lo
	v_cmp_le_u32_e32 vcc_lo, s42, v7
	;; [unrolled: 2-line block ×3, first 2 shown]
	v_cndmask_b32_e64 v17, 0, -1, vcc_lo
	v_cmp_eq_u32_e32 vcc_lo, s43, v5
	v_cndmask_b32_e32 v5, v14, v9, vcc_lo
	v_cmp_eq_u32_e32 vcc_lo, s43, v13
	v_add_nc_u64_e32 v[14:15], 2, v[2:3]
	v_cndmask_b32_e32 v7, v17, v7, vcc_lo
	s_delay_alu instid0(VALU_DEP_4) | instskip(NEXT) | instid1(VALU_DEP_2)
	v_cmp_ne_u32_e32 vcc_lo, 0, v5
	v_cmp_ne_u32_e64 s0, 0, v7
	s_delay_alu instid0(VALU_DEP_4) | instskip(NEXT) | instid1(VALU_DEP_1)
	v_dual_cndmask_b32 v5, v19, v15, vcc_lo :: v_dual_cndmask_b32 v7, v18, v14, vcc_lo
	v_dual_cndmask_b32 v3, v3, v5, s0 :: v_dual_cndmask_b32 v2, v2, v7, s0
	s_delay_alu instid0(VALU_DEP_1) | instskip(NEXT) | instid1(VALU_DEP_2)
	v_dual_mov_b32 v13, v12 :: v_dual_bitop2_b32 v3, v3, v12 bitop3:0x14
	v_xor_b32_e32 v2, v2, v12
	s_delay_alu instid0(VALU_DEP_1)
	v_sub_nc_u64_e32 v[12:13], v[2:3], v[12:13]
.LBB7_46:
	s_and_not1_saveexec_b32 s0, s1
	s_cbranch_execz .LBB7_48
; %bb.47:
	v_cvt_f32_u32_e32 v2, s12
	s_sub_co_i32 s1, 0, s12
	v_mov_b32_e32 v13, 0
	s_delay_alu instid0(VALU_DEP_2) | instskip(SKIP_1) | instid1(TRANS32_DEP_1)
	v_rcp_iflag_f32_e32 v2, v2
	v_nop
	v_mul_f32_e32 v2, 0x4f7ffffe, v2
	s_delay_alu instid0(VALU_DEP_1) | instskip(NEXT) | instid1(VALU_DEP_1)
	v_cvt_u32_f32_e32 v2, v2
	v_mul_lo_u32 v3, s1, v2
	s_delay_alu instid0(VALU_DEP_1) | instskip(NEXT) | instid1(VALU_DEP_1)
	v_mul_hi_u32 v3, v2, v3
	v_add_nc_u32_e32 v2, v2, v3
	s_delay_alu instid0(VALU_DEP_1) | instskip(NEXT) | instid1(VALU_DEP_1)
	v_mul_hi_u32 v2, v10, v2
	v_mul_lo_u32 v3, v2, s12
	s_delay_alu instid0(VALU_DEP_1) | instskip(NEXT) | instid1(VALU_DEP_1)
	v_sub_nc_u32_e32 v3, v10, v3
	v_subrev_nc_u32_e32 v7, s12, v3
	v_cmp_le_u32_e32 vcc_lo, s12, v3
	s_delay_alu instid0(VALU_DEP_2) | instskip(NEXT) | instid1(VALU_DEP_1)
	v_dual_add_nc_u32 v5, 1, v2 :: v_dual_cndmask_b32 v3, v3, v7, vcc_lo
	v_cndmask_b32_e32 v2, v2, v5, vcc_lo
	s_delay_alu instid0(VALU_DEP_2) | instskip(NEXT) | instid1(VALU_DEP_2)
	v_cmp_le_u32_e32 vcc_lo, s12, v3
	v_add_nc_u32_e32 v5, 1, v2
	s_delay_alu instid0(VALU_DEP_1)
	v_cndmask_b32_e32 v12, v2, v5, vcc_lo
.LBB7_48:
	s_or_b32 exec_lo, exec_lo, s0
	v_mul_u64_e32 v[2:3], s[12:13], v[0:1]
	s_delay_alu instid0(VALU_DEP_2) | instskip(SKIP_2) | instid1(VALU_DEP_2)
	v_min_i64 v[12:13], v[12:13], s[2:3]
	s_mov_b32 s14, 0
	s_mov_b32 s15, exec_lo
	v_add_nc_u64_e32 v[14:15], s[10:11], v[2:3]
	v_cmp_gt_i64_e32 vcc_lo, v[2:3], v[10:11]
	v_mov_b32_e32 v3, s14
	s_delay_alu instid0(VALU_DEP_3) | instskip(SKIP_1) | instid1(SALU_CYCLE_1)
	v_cmp_ge_i64_e64 s0, v[10:11], v[14:15]
	s_or_b32 s0, vcc_lo, s0
	v_cndmask_b32_e64 v2, 0, 1, s0
	s_delay_alu instid0(VALU_DEP_1) | instskip(NEXT) | instid1(VALU_DEP_1)
	v_add_nc_u64_e32 v[14:15], v[0:1], v[2:3]
	v_cmpx_le_i64_e64 v[14:15], v[12:13]
	s_cbranch_execz .LBB7_51
; %bb.49:
	global_load_b128 v[0:3], v6, s[4:5]
	v_mul_u64_e32 v[18:19], s[12:13], v[14:15]
	v_mov_b32_e32 v7, 0
	s_mul_u64 s[0:1], s[12:13], s[18:19]
	s_lshl_b64 s[42:43], s[16:17], 4
	s_lshl_b64 s[0:1], s[0:1], 4
	s_delay_alu instid0(VALU_DEP_1) | instskip(SKIP_3) | instid1(VALU_DEP_4)
	v_mov_b32_e32 v9, v7
	s_wait_xcnt 0x0
	v_add_nc_u64_e32 v[6:7], s[4:5], v[6:7]
	s_sub_nc_u64 s[0:1], s[42:43], s[0:1]
	v_sub_nc_u64_e32 v[10:11], v[10:11], v[18:19]
	v_mul_u64_e32 v[18:19], s[16:17], v[14:15]
	s_delay_alu instid0(VALU_DEP_2) | instskip(NEXT) | instid1(VALU_DEP_2)
	v_mul_u64_e32 v[10:11], s[18:19], v[10:11]
	v_lshlrev_b64_e32 v[18:19], 4, v[18:19]
	s_delay_alu instid0(VALU_DEP_1) | instskip(NEXT) | instid1(VALU_DEP_1)
	v_lshl_add_u64 v[10:11], v[10:11], 4, v[18:19]
	v_add_nc_u64_e32 v[8:9], v[10:11], v[8:9]
	s_delay_alu instid0(VALU_DEP_1) | instskip(SKIP_1) | instid1(VALU_DEP_2)
	v_add_nc_u64_e32 v[10:11], s[6:7], v[8:9]
	v_add_nc_u64_e32 v[8:9], -1, v[14:15]
	v_add_nc_u64_e32 v[10:11], 8, v[10:11]
.LBB7_50:                               ; =>This Inner Loop Header: Depth=1
	global_load_b128 v[18:21], v[10:11], off offset:-8
	v_add_nc_u64_e32 v[8:9], 1, v[8:9]
	s_wait_xcnt 0x0
	v_add_nc_u64_e32 v[10:11], s[0:1], v[10:11]
	s_delay_alu instid0(VALU_DEP_2)
	v_cmp_ge_i64_e32 vcc_lo, v[8:9], v[12:13]
	s_or_b32 s14, vcc_lo, s14
	s_wait_loadcnt 0x0
	v_add_f64_e32 v[0:1], v[0:1], v[18:19]
	v_add_f64_e32 v[2:3], v[2:3], v[20:21]
	global_store_b128 v[6:7], v[0:3], off
	s_wait_xcnt 0x0
	s_and_not1_b32 exec_lo, exec_lo, s14
	s_cbranch_execnz .LBB7_50
.LBB7_51:
	s_or_b32 exec_lo, exec_lo, s15
	v_add_nc_u32_e32 v4, 0x100, v4
	s_or_b32 exec_lo, exec_lo, s29
	s_delay_alu instid0(SALU_CYCLE_1) | instskip(NEXT) | instid1(VALU_DEP_1)
	s_mov_b32 s29, exec_lo
	v_cmpx_gt_i32_e64 s31, v4
	s_cbranch_execz .LBB7_3
.LBB7_52:
	v_cmp_ne_u32_e32 vcc_lo, 1, v16
	s_cbranch_vccnz .LBB7_59
; %bb.53:
	v_dual_mov_b32 v2, 0 :: v_dual_mov_b32 v8, 0
	v_mov_b32_e32 v6, 0
	s_and_not1_b32 vcc_lo, exec_lo, s33
	s_cbranch_vccnz .LBB7_58
; %bb.54:
	v_dual_mov_b32 v6, 0 :: v_dual_mov_b32 v0, v4
	v_dual_mov_b32 v8, 0 :: v_dual_mov_b32 v2, 0
	s_add_co_i32 s14, s22, 1
	s_mov_b64 s[0:1], 0xffffffffffffffe8
	s_and_b32 s14, s14, 30
	s_add_nc_u64 s[0:1], s[40:41], s[0:1]
.LBB7_55:                               ; =>This Inner Loop Header: Depth=1
	s_clause 0x1
	s_load_b128 s[44:47], s[0:1], 0x1c
	s_load_b64 s[42:43], s[0:1], 0x2c
	s_add_co_i32 s14, s14, -2
	s_delay_alu instid0(SALU_CYCLE_1) | instskip(SKIP_2) | instid1(VALU_DEP_1)
	s_cmp_eq_u32 s14, 0
	s_wait_kmcnt 0x0
	v_mul_hi_u32 v1, s45, v0
	v_add_nc_u32_e32 v1, v0, v1
	s_delay_alu instid0(VALU_DEP_1) | instskip(NEXT) | instid1(VALU_DEP_1)
	v_lshrrev_b32_e32 v1, s46, v1
	v_mul_hi_u32 v3, s42, v1
	v_mul_lo_u32 v5, v1, s44
	s_clause 0x1
	s_load_b128 s[48:51], s[0:1], 0xdc
	s_load_b64 s[44:45], s[0:1], 0xec
	s_wait_xcnt 0x0
	s_add_nc_u64 s[0:1], s[0:1], 24
	s_delay_alu instid0(VALU_DEP_1) | instskip(NEXT) | instid1(VALU_DEP_1)
	v_dual_add_nc_u32 v3, v1, v3 :: v_dual_sub_nc_u32 v5, v0, v5
	v_lshrrev_b32_e32 v0, s43, v3
	s_wait_kmcnt 0x0
	s_delay_alu instid0(VALU_DEP_2) | instskip(NEXT) | instid1(VALU_DEP_2)
	v_mad_u32 v6, v5, s48, v6
	v_mul_lo_u32 v3, v0, s47
	v_mad_u32 v2, v5, s50, v2
	v_mad_u32 v5, v5, s49, v8
	s_delay_alu instid0(VALU_DEP_3) | instskip(NEXT) | instid1(VALU_DEP_1)
	v_sub_nc_u32_e32 v1, v1, v3
	v_mad_u32 v6, v1, s51, v6
	s_delay_alu instid0(VALU_DEP_4) | instskip(NEXT) | instid1(VALU_DEP_4)
	v_mad_u32 v2, v1, s45, v2
	v_mad_u32 v8, v1, s44, v5
	s_cbranch_scc0 .LBB7_55
; %bb.56:
	s_bitcmp1_b32 s22, 0
	s_cselect_b32 s14, -1, 0
	s_delay_alu instid0(SALU_CYCLE_1)
	s_and_b32 vcc_lo, exec_lo, s14
	s_cbranch_vccnz .LBB7_58
; %bb.57:
	s_clause 0x1
	s_load_b96 s[44:46], s[0:1], 0x1c
	s_load_b96 s[48:50], s[0:1], 0xdc
	s_wait_kmcnt 0x0
	v_mul_hi_u32 v1, s45, v0
	s_delay_alu instid0(VALU_DEP_1) | instskip(NEXT) | instid1(VALU_DEP_1)
	v_add_nc_u32_e32 v1, v0, v1
	v_lshrrev_b32_e32 v1, s46, v1
	s_delay_alu instid0(VALU_DEP_1) | instskip(NEXT) | instid1(VALU_DEP_1)
	v_mul_lo_u32 v1, v1, s44
	v_sub_nc_u32_e32 v0, v0, v1
	s_delay_alu instid0(VALU_DEP_1)
	v_mad_u32 v6, v0, s48, v6
	v_mad_u32 v8, v0, s49, v8
	;; [unrolled: 1-line block ×3, first 2 shown]
.LBB7_58:
	s_cbranch_execz .LBB7_60
	s_branch .LBB7_62
.LBB7_59:
                                        ; implicit-def: $vgpr2
                                        ; implicit-def: $vgpr8
                                        ; implicit-def: $vgpr6
.LBB7_60:
	v_mov_b32_e32 v5, 0
	s_and_not1_b32 vcc_lo, exec_lo, s20
	s_delay_alu instid0(VALU_DEP_1) | instskip(NEXT) | instid1(VALU_DEP_1)
	v_mul_u64_e32 v[0:1], s[36:37], v[4:5]
	v_add_nc_u32_e32 v0, v4, v1
	s_delay_alu instid0(VALU_DEP_1) | instskip(NEXT) | instid1(VALU_DEP_1)
	v_lshrrev_b32_e32 v0, s23, v0
	v_mul_lo_u32 v1, v0, s21
	s_delay_alu instid0(VALU_DEP_1) | instskip(NEXT) | instid1(VALU_DEP_1)
	v_sub_nc_u32_e32 v1, v4, v1
	v_mul_lo_u32 v6, v1, s24
	v_mul_lo_u32 v2, v1, s26
	;; [unrolled: 1-line block ×3, first 2 shown]
	s_cbranch_vccnz .LBB7_62
; %bb.61:
	v_mov_b32_e32 v1, v5
	s_delay_alu instid0(VALU_DEP_1) | instskip(NEXT) | instid1(VALU_DEP_1)
	v_mul_u64_e32 v[10:11], s[38:39], v[0:1]
	v_add_nc_u32_e32 v1, v0, v11
	s_delay_alu instid0(VALU_DEP_1) | instskip(NEXT) | instid1(VALU_DEP_1)
	v_lshrrev_b32_e32 v1, s30, v1
	v_mul_lo_u32 v1, v1, s28
	s_delay_alu instid0(VALU_DEP_1) | instskip(NEXT) | instid1(VALU_DEP_1)
	v_sub_nc_u32_e32 v0, v0, v1
	v_mad_u32 v6, v0, s27, v6
	v_mad_u32 v8, v0, s34, v8
	;; [unrolled: 1-line block ×3, first 2 shown]
.LBB7_62:
	global_load_b64 v[10:11], v2, s[8:9]
	v_mov_b64_e32 v[0:1], 0
	s_mov_b32 s1, exec_lo
	s_wait_loadcnt 0x0
	v_cmpx_lt_i64_e64 s[10:11], v[10:11]
	s_cbranch_execz .LBB7_68
; %bb.63:
	v_sub_nc_u64_e64 v[12:13], v[10:11], s[10:11]
                                        ; implicit-def: $vgpr0_vgpr1
	s_mov_b32 s0, exec_lo
	s_delay_alu instid0(VALU_DEP_1) | instskip(NEXT) | instid1(VALU_DEP_1)
	v_dual_mov_b32 v2, 0 :: v_dual_bitop2_b32 v3, s13, v13 bitop3:0x54
	v_cmpx_ne_u64_e32 0, v[2:3]
	s_xor_b32 s44, exec_lo, s0
	s_cbranch_execz .LBB7_65
; %bb.64:
	s_ashr_i32 s14, s13, 31
	s_mov_b32 s53, 0
	s_mov_b32 s15, s14
	v_dual_mov_b32 v15, v2 :: v_dual_ashrrev_i32 v0, 31, v13
	s_add_nc_u64 s[42:43], s[12:13], s[14:15]
	v_mov_b32_e32 v19, v2
	s_xor_b64 s[42:43], s[42:43], s[14:15]
	s_delay_alu instid0(VALU_DEP_2)
	v_mov_b32_e32 v1, v0
	s_cvt_f32_u32 s0, s42
	s_cvt_f32_u32 s15, s43
	s_sub_nc_u64 s[48:49], 0, s[42:43]
	v_mov_b32_e32 v25, v2
	v_add_nc_u64_e32 v[12:13], v[12:13], v[0:1]
	s_fmamk_f32 s0, s15, 0x4f800000, s0
	v_mov_b32_e32 v3, v2
	s_delay_alu instid0(SALU_CYCLE_2) | instskip(NEXT) | instid1(VALU_DEP_2)
	v_s_rcp_f32 s0, s0
	v_xor_b32_e32 v14, v12, v0
	s_delay_alu instid0(VALU_DEP_3) | instskip(SKIP_1) | instid1(TRANS32_DEP_1)
	v_xor_b32_e32 v18, v13, v0
	v_xor_b32_e32 v0, s14, v0
	s_mul_f32 s0, s0, 0x5f7ffffc
	s_delay_alu instid0(SALU_CYCLE_3) | instskip(NEXT) | instid1(SALU_CYCLE_3)
	s_mul_f32 s15, s0, 0x2f800000
	s_trunc_f32 s15, s15
	s_delay_alu instid0(SALU_CYCLE_3) | instskip(SKIP_1) | instid1(SALU_CYCLE_2)
	s_fmamk_f32 s0, s15, 0xcf800000, s0
	s_cvt_u32_f32 s47, s15
	s_cvt_u32_f32 s46, s0
	s_delay_alu instid0(SALU_CYCLE_3) | instskip(NEXT) | instid1(SALU_CYCLE_1)
	s_mul_u64 s[50:51], s[48:49], s[46:47]
	s_mul_hi_u32 s55, s46, s51
	s_mul_i32 s54, s46, s51
	s_mul_hi_u32 s52, s46, s50
	s_mul_i32 s15, s47, s50
	s_add_nc_u64 s[54:55], s[52:53], s[54:55]
	s_mul_hi_u32 s0, s47, s50
	s_mul_hi_u32 s45, s47, s51
	s_add_co_u32 s15, s54, s15
	s_add_co_ci_u32 s52, s55, s0
	s_mul_i32 s50, s47, s51
	s_add_co_ci_u32 s51, s45, 0
	s_delay_alu instid0(SALU_CYCLE_1) | instskip(NEXT) | instid1(SALU_CYCLE_1)
	s_add_nc_u64 s[50:51], s[52:53], s[50:51]
	s_add_co_u32 s46, s46, s50
	s_cselect_b32 s0, -1, 0
	s_delay_alu instid0(SALU_CYCLE_1) | instskip(SKIP_1) | instid1(SALU_CYCLE_1)
	s_cmp_lg_u32 s0, 0
	s_add_co_ci_u32 s47, s47, s51
	s_mul_u64 s[48:49], s[48:49], s[46:47]
	s_delay_alu instid0(SALU_CYCLE_1)
	s_mul_hi_u32 s51, s46, s49
	s_mul_i32 s50, s46, s49
	s_mul_hi_u32 s52, s46, s48
	s_mul_i32 s15, s47, s48
	s_add_nc_u64 s[50:51], s[52:53], s[50:51]
	s_mul_hi_u32 s0, s47, s48
	s_mul_hi_u32 s45, s47, s49
	s_add_co_u32 s15, s50, s15
	s_add_co_ci_u32 s52, s51, s0
	s_mul_i32 s48, s47, s49
	s_add_co_ci_u32 s49, s45, 0
	s_delay_alu instid0(SALU_CYCLE_1) | instskip(NEXT) | instid1(SALU_CYCLE_1)
	s_add_nc_u64 s[48:49], s[52:53], s[48:49]
	s_add_co_u32 s0, s46, s48
	s_cselect_b32 s15, -1, 0
	v_mul_hi_u32 v24, v14, s0
	s_cmp_lg_u32 s15, 0
	s_add_co_ci_u32 s52, s47, s49
	s_mov_b64 s[46:47], 0xffffffff
	v_mul_u64_e32 v[20:21], s[52:53], v[14:15]
	s_and_b64 s[46:47], s[0:1], s[46:47]
	v_mul_u64_e32 v[22:23], s[52:53], v[18:19]
	v_mul_u64_e32 v[12:13], s[46:47], v[18:19]
	s_delay_alu instid0(VALU_DEP_3) | instskip(NEXT) | instid1(VALU_DEP_1)
	v_add_nc_u64_e32 v[20:21], v[24:25], v[20:21]
	v_add_co_u32 v1, vcc_lo, v20, v12
	s_delay_alu instid0(VALU_DEP_2) | instskip(SKIP_1) | instid1(VALU_DEP_1)
	v_add_co_ci_u32_e32 v2, vcc_lo, v21, v13, vcc_lo
	v_add_co_ci_u32_e32 v23, vcc_lo, 0, v23, vcc_lo
	v_add_nc_u64_e32 v[2:3], v[2:3], v[22:23]
	s_delay_alu instid0(VALU_DEP_1) | instskip(NEXT) | instid1(VALU_DEP_1)
	v_mul_u64_e32 v[12:13], s[42:43], v[2:3]
	v_sub_nc_u32_e32 v1, v18, v13
	s_delay_alu instid0(VALU_DEP_2) | instskip(NEXT) | instid1(VALU_DEP_1)
	v_sub_co_u32 v5, vcc_lo, v14, v12
	v_sub_co_ci_u32_e64 v9, null, v18, v13, vcc_lo
	s_delay_alu instid0(VALU_DEP_3) | instskip(NEXT) | instid1(VALU_DEP_3)
	v_subrev_co_ci_u32_e64 v1, null, s43, v1, vcc_lo
	v_sub_co_u32 v7, s0, v5, s42
	v_add_nc_u64_e32 v[14:15], 1, v[2:3]
	s_delay_alu instid0(VALU_DEP_3) | instskip(NEXT) | instid1(VALU_DEP_3)
	v_subrev_co_ci_u32_e64 v1, null, 0, v1, s0
	v_cmp_le_u32_e32 vcc_lo, s42, v7
	v_cndmask_b32_e64 v7, 0, -1, vcc_lo
	s_delay_alu instid0(VALU_DEP_3)
	v_cmp_le_u32_e32 vcc_lo, s43, v1
	v_cndmask_b32_e64 v12, 0, -1, vcc_lo
	v_cmp_le_u32_e32 vcc_lo, s42, v5
	v_cndmask_b32_e64 v5, 0, -1, vcc_lo
	;; [unrolled: 2-line block ×3, first 2 shown]
	v_cmp_eq_u32_e32 vcc_lo, s43, v1
	v_cndmask_b32_e32 v1, v12, v7, vcc_lo
	v_cmp_eq_u32_e32 vcc_lo, s43, v9
	v_add_nc_u64_e32 v[12:13], 2, v[2:3]
	v_cndmask_b32_e32 v5, v17, v5, vcc_lo
	s_delay_alu instid0(VALU_DEP_4) | instskip(NEXT) | instid1(VALU_DEP_2)
	v_cmp_ne_u32_e32 vcc_lo, 0, v1
	v_cmp_ne_u32_e64 s0, 0, v5
	s_delay_alu instid0(VALU_DEP_4) | instskip(NEXT) | instid1(VALU_DEP_1)
	v_dual_cndmask_b32 v1, v15, v13, vcc_lo :: v_dual_cndmask_b32 v5, v14, v12, vcc_lo
                                        ; implicit-def: $vgpr12_vgpr13
	v_dual_cndmask_b32 v3, v3, v1, s0 :: v_dual_mov_b32 v1, v0
	s_delay_alu instid0(VALU_DEP_1) | instskip(NEXT) | instid1(VALU_DEP_1)
	v_dual_cndmask_b32 v2, v2, v5, s0 :: v_dual_bitop2_b32 v3, v3, v0 bitop3:0x14
	v_xor_b32_e32 v2, v2, v0
	s_delay_alu instid0(VALU_DEP_1)
	v_sub_nc_u64_e32 v[0:1], v[2:3], v[0:1]
.LBB7_65:
	s_and_not1_saveexec_b32 s0, s44
	s_cbranch_execz .LBB7_67
; %bb.66:
	v_cvt_f32_u32_e32 v0, s12
	s_sub_co_i32 s14, 0, s12
	s_delay_alu instid0(VALU_DEP_1) | instskip(SKIP_1) | instid1(TRANS32_DEP_1)
	v_rcp_iflag_f32_e32 v0, v0
	v_nop
	v_mul_f32_e32 v0, 0x4f7ffffe, v0
	s_delay_alu instid0(VALU_DEP_1) | instskip(NEXT) | instid1(VALU_DEP_1)
	v_cvt_u32_f32_e32 v0, v0
	v_mul_lo_u32 v1, s14, v0
	s_delay_alu instid0(VALU_DEP_1) | instskip(NEXT) | instid1(VALU_DEP_1)
	v_mul_hi_u32 v1, v0, v1
	v_add_nc_u32_e32 v0, v0, v1
	s_delay_alu instid0(VALU_DEP_1) | instskip(NEXT) | instid1(VALU_DEP_1)
	v_mul_hi_u32 v0, v12, v0
	v_mul_lo_u32 v1, v0, s12
	s_delay_alu instid0(VALU_DEP_1) | instskip(NEXT) | instid1(VALU_DEP_1)
	v_dual_add_nc_u32 v2, 1, v0 :: v_dual_sub_nc_u32 v1, v12, v1
	v_subrev_nc_u32_e32 v3, s12, v1
	v_cmp_le_u32_e32 vcc_lo, s12, v1
	s_delay_alu instid0(VALU_DEP_2) | instskip(NEXT) | instid1(VALU_DEP_1)
	v_dual_cndmask_b32 v1, v1, v3 :: v_dual_cndmask_b32 v0, v0, v2
	v_cmp_le_u32_e32 vcc_lo, s12, v1
	s_delay_alu instid0(VALU_DEP_2) | instskip(NEXT) | instid1(VALU_DEP_1)
	v_dual_mov_b32 v1, 0 :: v_dual_add_nc_u32 v2, 1, v0
	v_cndmask_b32_e32 v0, v0, v2, vcc_lo
.LBB7_67:
	s_or_b32 exec_lo, exec_lo, s0
.LBB7_68:
	s_delay_alu instid0(SALU_CYCLE_1) | instskip(SKIP_2) | instid1(VALU_DEP_1)
	s_or_b32 exec_lo, exec_lo, s1
	v_dual_mov_b32 v2, 0 :: v_dual_bitop2_b32 v3, s13, v11 bitop3:0x54
                                        ; implicit-def: $vgpr12_vgpr13
	s_mov_b32 s0, exec_lo
	v_cmpx_ne_u64_e32 0, v[2:3]
	s_xor_b32 s1, exec_lo, s0
	s_cbranch_execz .LBB7_70
; %bb.69:
	s_ashr_i32 s14, s13, 31
	s_mov_b32 s51, 0
	s_mov_b32 s15, s14
	v_dual_mov_b32 v19, v2 :: v_dual_ashrrev_i32 v12, 31, v11
	s_add_nc_u64 s[42:43], s[12:13], s[14:15]
	v_dual_mov_b32 v27, v2 :: v_dual_mov_b32 v3, v2
	s_xor_b64 s[42:43], s[42:43], s[14:15]
	s_delay_alu instid0(VALU_DEP_2) | instskip(SKIP_3) | instid1(VALU_DEP_1)
	v_mov_b32_e32 v13, v12
	s_cvt_f32_u32 s0, s42
	s_cvt_f32_u32 s15, s43
	s_sub_nc_u64 s[46:47], 0, s[42:43]
	v_add_nc_u64_e32 v[14:15], v[10:11], v[12:13]
	s_delay_alu instid0(SALU_CYCLE_1) | instskip(SKIP_1) | instid1(SALU_CYCLE_2)
	s_fmamk_f32 s0, s15, 0x4f800000, s0
	v_mov_b32_e32 v21, v2
	v_s_rcp_f32 s0, s0
	s_delay_alu instid0(VALU_DEP_2) | instskip(NEXT) | instid1(VALU_DEP_3)
	v_xor_b32_e32 v18, v14, v12
	v_xor_b32_e32 v20, v15, v12
	;; [unrolled: 1-line block ×3, first 2 shown]
	s_delay_alu instid0(TRANS32_DEP_1) | instskip(NEXT) | instid1(SALU_CYCLE_3)
	s_mul_f32 s0, s0, 0x5f7ffffc
	s_mul_f32 s15, s0, 0x2f800000
	s_delay_alu instid0(SALU_CYCLE_3) | instskip(NEXT) | instid1(SALU_CYCLE_3)
	s_trunc_f32 s15, s15
	s_fmamk_f32 s0, s15, 0xcf800000, s0
	s_cvt_u32_f32 s45, s15
	s_delay_alu instid0(SALU_CYCLE_2) | instskip(NEXT) | instid1(SALU_CYCLE_3)
	s_cvt_u32_f32 s44, s0
	s_mul_u64 s[48:49], s[46:47], s[44:45]
	s_delay_alu instid0(SALU_CYCLE_1)
	s_mul_hi_u32 s53, s44, s49
	s_mul_i32 s52, s44, s49
	s_mul_hi_u32 s50, s44, s48
	s_mul_i32 s15, s45, s48
	s_add_nc_u64 s[52:53], s[50:51], s[52:53]
	s_mul_hi_u32 s0, s45, s48
	s_mul_hi_u32 s54, s45, s49
	s_add_co_u32 s15, s52, s15
	s_add_co_ci_u32 s50, s53, s0
	s_mul_i32 s48, s45, s49
	s_add_co_ci_u32 s49, s54, 0
	s_delay_alu instid0(SALU_CYCLE_1) | instskip(NEXT) | instid1(SALU_CYCLE_1)
	s_add_nc_u64 s[48:49], s[50:51], s[48:49]
	s_add_co_u32 s44, s44, s48
	s_cselect_b32 s0, -1, 0
	s_delay_alu instid0(SALU_CYCLE_1) | instskip(SKIP_1) | instid1(SALU_CYCLE_1)
	s_cmp_lg_u32 s0, 0
	s_add_co_ci_u32 s45, s45, s49
	s_mul_u64 s[46:47], s[46:47], s[44:45]
	s_delay_alu instid0(SALU_CYCLE_1)
	s_mul_hi_u32 s49, s44, s47
	s_mul_i32 s48, s44, s47
	s_mul_hi_u32 s50, s44, s46
	s_mul_i32 s15, s45, s46
	s_add_nc_u64 s[48:49], s[50:51], s[48:49]
	s_mul_hi_u32 s0, s45, s46
	s_mul_hi_u32 s52, s45, s47
	s_add_co_u32 s15, s48, s15
	s_add_co_ci_u32 s50, s49, s0
	s_mul_i32 s46, s45, s47
	s_add_co_ci_u32 s47, s52, 0
	s_delay_alu instid0(SALU_CYCLE_1) | instskip(NEXT) | instid1(SALU_CYCLE_1)
	s_add_nc_u64 s[46:47], s[50:51], s[46:47]
	s_add_co_u32 s0, s44, s46
	s_cselect_b32 s15, -1, 0
	v_mul_hi_u32 v26, v18, s0
	s_cmp_lg_u32 s15, 0
	s_add_co_ci_u32 s50, s45, s47
	s_mov_b64 s[44:45], 0xffffffff
	v_mul_u64_e32 v[22:23], s[50:51], v[18:19]
	s_and_b64 s[44:45], s[0:1], s[44:45]
	v_mul_u64_e32 v[24:25], s[50:51], v[20:21]
	v_mul_u64_e32 v[14:15], s[44:45], v[20:21]
	s_delay_alu instid0(VALU_DEP_3) | instskip(NEXT) | instid1(VALU_DEP_1)
	v_add_nc_u64_e32 v[22:23], v[26:27], v[22:23]
	v_add_co_u32 v2, vcc_lo, v22, v14
	s_delay_alu instid0(VALU_DEP_2) | instskip(SKIP_1) | instid1(VALU_DEP_1)
	v_add_co_ci_u32_e32 v2, vcc_lo, v23, v15, vcc_lo
	v_add_co_ci_u32_e32 v25, vcc_lo, 0, v25, vcc_lo
	v_add_nc_u64_e32 v[2:3], v[2:3], v[24:25]
	s_delay_alu instid0(VALU_DEP_1) | instskip(NEXT) | instid1(VALU_DEP_1)
	v_mul_u64_e32 v[14:15], s[42:43], v[2:3]
	v_sub_co_u32 v7, vcc_lo, v18, v14
	v_add_nc_u64_e32 v[18:19], 1, v[2:3]
	s_delay_alu instid0(VALU_DEP_3) | instskip(SKIP_1) | instid1(VALU_DEP_4)
	v_sub_nc_u32_e32 v5, v20, v15
	v_sub_co_ci_u32_e64 v13, null, v20, v15, vcc_lo
	v_sub_co_u32 v9, s0, v7, s42
	s_delay_alu instid0(VALU_DEP_3) | instskip(NEXT) | instid1(VALU_DEP_2)
	v_subrev_co_ci_u32_e64 v5, null, s43, v5, vcc_lo
	v_cmp_le_u32_e32 vcc_lo, s42, v9
	s_delay_alu instid0(VALU_DEP_2) | instskip(SKIP_1) | instid1(VALU_DEP_2)
	v_subrev_co_ci_u32_e64 v5, null, 0, v5, s0
	v_cndmask_b32_e64 v9, 0, -1, vcc_lo
	v_cmp_le_u32_e32 vcc_lo, s43, v5
	v_cndmask_b32_e64 v14, 0, -1, vcc_lo
	v_cmp_le_u32_e32 vcc_lo, s42, v7
	;; [unrolled: 2-line block ×3, first 2 shown]
	v_cndmask_b32_e64 v17, 0, -1, vcc_lo
	v_cmp_eq_u32_e32 vcc_lo, s43, v5
	v_cndmask_b32_e32 v5, v14, v9, vcc_lo
	v_cmp_eq_u32_e32 vcc_lo, s43, v13
	v_add_nc_u64_e32 v[14:15], 2, v[2:3]
	v_cndmask_b32_e32 v7, v17, v7, vcc_lo
	s_delay_alu instid0(VALU_DEP_4) | instskip(NEXT) | instid1(VALU_DEP_2)
	v_cmp_ne_u32_e32 vcc_lo, 0, v5
	v_cmp_ne_u32_e64 s0, 0, v7
	s_delay_alu instid0(VALU_DEP_4) | instskip(NEXT) | instid1(VALU_DEP_1)
	v_dual_cndmask_b32 v5, v19, v15, vcc_lo :: v_dual_cndmask_b32 v7, v18, v14, vcc_lo
	v_dual_cndmask_b32 v3, v3, v5, s0 :: v_dual_cndmask_b32 v2, v2, v7, s0
	s_delay_alu instid0(VALU_DEP_1) | instskip(NEXT) | instid1(VALU_DEP_2)
	v_dual_mov_b32 v13, v12 :: v_dual_bitop2_b32 v3, v3, v12 bitop3:0x14
	v_xor_b32_e32 v2, v2, v12
	s_delay_alu instid0(VALU_DEP_1)
	v_sub_nc_u64_e32 v[12:13], v[2:3], v[12:13]
.LBB7_70:
	s_and_not1_saveexec_b32 s0, s1
	s_cbranch_execz .LBB7_72
; %bb.71:
	v_cvt_f32_u32_e32 v2, s12
	s_sub_co_i32 s1, 0, s12
	v_mov_b32_e32 v13, 0
	s_delay_alu instid0(VALU_DEP_2) | instskip(SKIP_1) | instid1(TRANS32_DEP_1)
	v_rcp_iflag_f32_e32 v2, v2
	v_nop
	v_mul_f32_e32 v2, 0x4f7ffffe, v2
	s_delay_alu instid0(VALU_DEP_1) | instskip(NEXT) | instid1(VALU_DEP_1)
	v_cvt_u32_f32_e32 v2, v2
	v_mul_lo_u32 v3, s1, v2
	s_delay_alu instid0(VALU_DEP_1) | instskip(NEXT) | instid1(VALU_DEP_1)
	v_mul_hi_u32 v3, v2, v3
	v_add_nc_u32_e32 v2, v2, v3
	s_delay_alu instid0(VALU_DEP_1) | instskip(NEXT) | instid1(VALU_DEP_1)
	v_mul_hi_u32 v2, v10, v2
	v_mul_lo_u32 v3, v2, s12
	s_delay_alu instid0(VALU_DEP_1) | instskip(NEXT) | instid1(VALU_DEP_1)
	v_sub_nc_u32_e32 v3, v10, v3
	v_subrev_nc_u32_e32 v7, s12, v3
	v_cmp_le_u32_e32 vcc_lo, s12, v3
	s_delay_alu instid0(VALU_DEP_2) | instskip(NEXT) | instid1(VALU_DEP_1)
	v_dual_add_nc_u32 v5, 1, v2 :: v_dual_cndmask_b32 v3, v3, v7, vcc_lo
	v_cndmask_b32_e32 v2, v2, v5, vcc_lo
	s_delay_alu instid0(VALU_DEP_2) | instskip(NEXT) | instid1(VALU_DEP_2)
	v_cmp_le_u32_e32 vcc_lo, s12, v3
	v_add_nc_u32_e32 v5, 1, v2
	s_delay_alu instid0(VALU_DEP_1)
	v_cndmask_b32_e32 v12, v2, v5, vcc_lo
.LBB7_72:
	s_or_b32 exec_lo, exec_lo, s0
	v_mul_u64_e32 v[2:3], s[12:13], v[0:1]
	s_delay_alu instid0(VALU_DEP_2) | instskip(SKIP_2) | instid1(VALU_DEP_2)
	v_min_i64 v[12:13], v[12:13], s[2:3]
	s_mov_b32 s14, 0
	s_mov_b32 s15, exec_lo
	v_add_nc_u64_e32 v[14:15], s[10:11], v[2:3]
	v_cmp_gt_i64_e32 vcc_lo, v[2:3], v[10:11]
	v_mov_b32_e32 v3, s14
	s_delay_alu instid0(VALU_DEP_3) | instskip(SKIP_1) | instid1(SALU_CYCLE_1)
	v_cmp_ge_i64_e64 s0, v[10:11], v[14:15]
	s_or_b32 s0, vcc_lo, s0
	v_cndmask_b32_e64 v2, 0, 1, s0
	s_delay_alu instid0(VALU_DEP_1) | instskip(NEXT) | instid1(VALU_DEP_1)
	v_add_nc_u64_e32 v[14:15], v[0:1], v[2:3]
	v_cmpx_le_i64_e64 v[14:15], v[12:13]
	s_cbranch_execz .LBB7_75
; %bb.73:
	global_load_b128 v[0:3], v6, s[4:5]
	v_mul_u64_e32 v[18:19], s[12:13], v[14:15]
	v_mov_b32_e32 v7, 0
	s_mul_u64 s[0:1], s[12:13], s[18:19]
	s_lshl_b64 s[42:43], s[16:17], 4
	s_lshl_b64 s[0:1], s[0:1], 4
	s_delay_alu instid0(VALU_DEP_1) | instskip(SKIP_3) | instid1(VALU_DEP_4)
	v_mov_b32_e32 v9, v7
	s_wait_xcnt 0x0
	v_add_nc_u64_e32 v[6:7], s[4:5], v[6:7]
	s_sub_nc_u64 s[0:1], s[42:43], s[0:1]
	v_sub_nc_u64_e32 v[10:11], v[10:11], v[18:19]
	v_mul_u64_e32 v[18:19], s[16:17], v[14:15]
	s_delay_alu instid0(VALU_DEP_2) | instskip(NEXT) | instid1(VALU_DEP_2)
	v_mul_u64_e32 v[10:11], s[18:19], v[10:11]
	v_lshlrev_b64_e32 v[18:19], 4, v[18:19]
	s_delay_alu instid0(VALU_DEP_1) | instskip(NEXT) | instid1(VALU_DEP_1)
	v_lshl_add_u64 v[10:11], v[10:11], 4, v[18:19]
	v_add_nc_u64_e32 v[8:9], v[10:11], v[8:9]
	s_delay_alu instid0(VALU_DEP_1) | instskip(SKIP_1) | instid1(VALU_DEP_2)
	v_add_nc_u64_e32 v[10:11], s[6:7], v[8:9]
	v_add_nc_u64_e32 v[8:9], -1, v[14:15]
	v_add_nc_u64_e32 v[10:11], 8, v[10:11]
.LBB7_74:                               ; =>This Inner Loop Header: Depth=1
	global_load_b128 v[18:21], v[10:11], off offset:-8
	v_add_nc_u64_e32 v[8:9], 1, v[8:9]
	s_wait_xcnt 0x0
	v_add_nc_u64_e32 v[10:11], s[0:1], v[10:11]
	s_delay_alu instid0(VALU_DEP_2)
	v_cmp_ge_i64_e32 vcc_lo, v[8:9], v[12:13]
	s_or_b32 s14, vcc_lo, s14
	s_wait_loadcnt 0x0
	v_add_f64_e32 v[0:1], v[0:1], v[18:19]
	v_add_f64_e32 v[2:3], v[2:3], v[20:21]
	global_store_b128 v[6:7], v[0:3], off
	s_wait_xcnt 0x0
	s_and_not1_b32 exec_lo, exec_lo, s14
	s_cbranch_execnz .LBB7_74
.LBB7_75:
	s_or_b32 exec_lo, exec_lo, s15
	v_add_nc_u32_e32 v4, 0x100, v4
	s_or_b32 exec_lo, exec_lo, s29
	s_delay_alu instid0(SALU_CYCLE_1) | instskip(NEXT) | instid1(VALU_DEP_1)
	s_mov_b32 s0, exec_lo
	v_cmpx_gt_i32_e64 s31, v4
	s_cbranch_execz .LBB7_99
.LBB7_76:
	v_cmp_ne_u32_e32 vcc_lo, 1, v16
	s_cbranch_vccnz .LBB7_83
; %bb.77:
	v_dual_mov_b32 v2, 0 :: v_dual_mov_b32 v8, 0
	v_mov_b32_e32 v6, 0
	s_and_not1_b32 vcc_lo, exec_lo, s33
	s_cbranch_vccnz .LBB7_82
; %bb.78:
	v_dual_mov_b32 v6, 0 :: v_dual_mov_b32 v0, v4
	v_dual_mov_b32 v8, 0 :: v_dual_mov_b32 v2, 0
	s_add_co_i32 s14, s22, 1
	s_mov_b64 s[0:1], 0xffffffffffffffe8
	s_and_b32 s14, s14, 30
	s_add_nc_u64 s[0:1], s[40:41], s[0:1]
.LBB7_79:                               ; =>This Inner Loop Header: Depth=1
	s_clause 0x1
	s_load_b128 s[40:43], s[0:1], 0x1c
	s_load_b64 s[48:49], s[0:1], 0x2c
	s_add_co_i32 s14, s14, -2
	s_delay_alu instid0(SALU_CYCLE_1) | instskip(SKIP_2) | instid1(VALU_DEP_1)
	s_cmp_eq_u32 s14, 0
	s_wait_kmcnt 0x0
	v_mul_hi_u32 v1, s41, v0
	v_add_nc_u32_e32 v1, v0, v1
	s_delay_alu instid0(VALU_DEP_1) | instskip(NEXT) | instid1(VALU_DEP_1)
	v_lshrrev_b32_e32 v1, s42, v1
	v_mul_hi_u32 v3, s48, v1
	v_mul_lo_u32 v5, v1, s40
	s_clause 0x1
	s_load_b128 s[44:47], s[0:1], 0xdc
	s_load_b64 s[40:41], s[0:1], 0xec
	s_wait_xcnt 0x0
	s_add_nc_u64 s[0:1], s[0:1], 24
	s_delay_alu instid0(VALU_DEP_1) | instskip(NEXT) | instid1(VALU_DEP_1)
	v_dual_add_nc_u32 v3, v1, v3 :: v_dual_sub_nc_u32 v5, v0, v5
	v_lshrrev_b32_e32 v0, s49, v3
	s_wait_kmcnt 0x0
	s_delay_alu instid0(VALU_DEP_2) | instskip(NEXT) | instid1(VALU_DEP_2)
	v_mad_u32 v6, v5, s44, v6
	v_mul_lo_u32 v3, v0, s43
	v_mad_u32 v2, v5, s46, v2
	v_mad_u32 v5, v5, s45, v8
	s_delay_alu instid0(VALU_DEP_3) | instskip(NEXT) | instid1(VALU_DEP_1)
	v_sub_nc_u32_e32 v1, v1, v3
	v_mad_u32 v6, v1, s47, v6
	s_delay_alu instid0(VALU_DEP_4) | instskip(NEXT) | instid1(VALU_DEP_4)
	v_mad_u32 v2, v1, s41, v2
	v_mad_u32 v8, v1, s40, v5
	s_cbranch_scc0 .LBB7_79
; %bb.80:
	s_bitcmp1_b32 s22, 0
	s_cselect_b32 s14, -1, 0
	s_delay_alu instid0(SALU_CYCLE_1)
	s_and_b32 vcc_lo, exec_lo, s14
	s_cbranch_vccnz .LBB7_82
; %bb.81:
	s_clause 0x1
	s_load_b96 s[40:42], s[0:1], 0x1c
	s_load_b96 s[44:46], s[0:1], 0xdc
	s_wait_kmcnt 0x0
	v_mul_hi_u32 v1, s41, v0
	s_delay_alu instid0(VALU_DEP_1) | instskip(NEXT) | instid1(VALU_DEP_1)
	v_add_nc_u32_e32 v1, v0, v1
	v_lshrrev_b32_e32 v1, s42, v1
	s_delay_alu instid0(VALU_DEP_1) | instskip(NEXT) | instid1(VALU_DEP_1)
	v_mul_lo_u32 v1, v1, s40
	v_sub_nc_u32_e32 v0, v0, v1
	s_delay_alu instid0(VALU_DEP_1)
	v_mad_u32 v6, v0, s44, v6
	v_mad_u32 v8, v0, s45, v8
	;; [unrolled: 1-line block ×3, first 2 shown]
.LBB7_82:
	s_cbranch_execz .LBB7_84
	s_branch .LBB7_86
.LBB7_83:
                                        ; implicit-def: $vgpr2
                                        ; implicit-def: $vgpr8
                                        ; implicit-def: $vgpr6
.LBB7_84:
	v_mov_b32_e32 v5, 0
	s_and_not1_b32 vcc_lo, exec_lo, s20
	s_delay_alu instid0(VALU_DEP_1) | instskip(NEXT) | instid1(VALU_DEP_1)
	v_mul_u64_e32 v[0:1], s[36:37], v[4:5]
	v_add_nc_u32_e32 v0, v4, v1
	s_delay_alu instid0(VALU_DEP_1) | instskip(NEXT) | instid1(VALU_DEP_1)
	v_lshrrev_b32_e32 v0, s23, v0
	v_mul_lo_u32 v1, v0, s21
	s_delay_alu instid0(VALU_DEP_1) | instskip(NEXT) | instid1(VALU_DEP_1)
	v_sub_nc_u32_e32 v1, v4, v1
	v_mul_lo_u32 v6, v1, s24
	v_mul_lo_u32 v2, v1, s26
	;; [unrolled: 1-line block ×3, first 2 shown]
	s_cbranch_vccnz .LBB7_86
; %bb.85:
	v_mov_b32_e32 v1, v5
	s_delay_alu instid0(VALU_DEP_1) | instskip(NEXT) | instid1(VALU_DEP_1)
	v_mul_u64_e32 v[4:5], s[38:39], v[0:1]
	v_add_nc_u32_e32 v1, v0, v5
	s_delay_alu instid0(VALU_DEP_1) | instskip(NEXT) | instid1(VALU_DEP_1)
	v_lshrrev_b32_e32 v1, s30, v1
	v_mul_lo_u32 v1, v1, s28
	s_delay_alu instid0(VALU_DEP_1) | instskip(NEXT) | instid1(VALU_DEP_1)
	v_sub_nc_u32_e32 v0, v0, v1
	v_mad_u32 v6, v0, s27, v6
	v_mad_u32 v8, v0, s34, v8
	;; [unrolled: 1-line block ×3, first 2 shown]
.LBB7_86:
	global_load_b64 v[4:5], v2, s[8:9]
	v_mov_b64_e32 v[0:1], 0
	s_mov_b32 s1, exec_lo
	s_wait_loadcnt 0x0
	v_cmpx_lt_i64_e64 s[10:11], v[4:5]
	s_cbranch_execz .LBB7_92
; %bb.87:
	v_sub_nc_u64_e64 v[10:11], v[4:5], s[10:11]
                                        ; implicit-def: $vgpr0_vgpr1
	s_mov_b32 s0, exec_lo
	s_delay_alu instid0(VALU_DEP_1) | instskip(NEXT) | instid1(VALU_DEP_1)
	v_dual_mov_b32 v2, 0 :: v_dual_bitop2_b32 v3, s13, v11 bitop3:0x54
	v_cmpx_ne_u64_e32 0, v[2:3]
	s_xor_b32 s20, exec_lo, s0
	s_cbranch_execz .LBB7_89
; %bb.88:
	s_ashr_i32 s8, s13, 31
	s_mov_b32 s29, 0
	s_mov_b32 s9, s8
	v_dual_mov_b32 v13, v2 :: v_dual_ashrrev_i32 v0, 31, v11
	s_add_nc_u64 s[14:15], s[12:13], s[8:9]
	v_dual_mov_b32 v21, v2 :: v_dual_mov_b32 v3, v2
	s_xor_b64 s[14:15], s[14:15], s[8:9]
	s_delay_alu instid0(VALU_DEP_2) | instskip(SKIP_3) | instid1(VALU_DEP_1)
	v_mov_b32_e32 v1, v0
	s_cvt_f32_u32 s0, s14
	s_cvt_f32_u32 s9, s15
	s_sub_nc_u64 s[24:25], 0, s[14:15]
	v_add_nc_u64_e32 v[10:11], v[10:11], v[0:1]
	s_delay_alu instid0(SALU_CYCLE_1) | instskip(SKIP_1) | instid1(SALU_CYCLE_2)
	s_fmamk_f32 s0, s9, 0x4f800000, s0
	v_mov_b32_e32 v15, v2
	v_s_rcp_f32 s0, s0
	s_delay_alu instid0(VALU_DEP_2) | instskip(NEXT) | instid1(VALU_DEP_3)
	v_xor_b32_e32 v12, v10, v0
	v_xor_b32_e32 v14, v11, v0
	;; [unrolled: 1-line block ×3, first 2 shown]
	s_delay_alu instid0(TRANS32_DEP_1) | instskip(NEXT) | instid1(SALU_CYCLE_3)
	s_mul_f32 s0, s0, 0x5f7ffffc
	s_mul_f32 s9, s0, 0x2f800000
	s_delay_alu instid0(SALU_CYCLE_3) | instskip(NEXT) | instid1(SALU_CYCLE_3)
	s_trunc_f32 s9, s9
	s_fmamk_f32 s0, s9, 0xcf800000, s0
	s_cvt_u32_f32 s23, s9
	s_delay_alu instid0(SALU_CYCLE_2) | instskip(NEXT) | instid1(SALU_CYCLE_3)
	s_cvt_u32_f32 s22, s0
	s_mul_u64 s[26:27], s[24:25], s[22:23]
	s_delay_alu instid0(SALU_CYCLE_1)
	s_mul_hi_u32 s31, s22, s27
	s_mul_i32 s30, s22, s27
	s_mul_hi_u32 s28, s22, s26
	s_mul_i32 s9, s23, s26
	s_add_nc_u64 s[30:31], s[28:29], s[30:31]
	s_mul_hi_u32 s0, s23, s26
	s_mul_hi_u32 s21, s23, s27
	s_add_co_u32 s9, s30, s9
	s_add_co_ci_u32 s28, s31, s0
	s_mul_i32 s26, s23, s27
	s_add_co_ci_u32 s27, s21, 0
	s_delay_alu instid0(SALU_CYCLE_1) | instskip(NEXT) | instid1(SALU_CYCLE_1)
	s_add_nc_u64 s[26:27], s[28:29], s[26:27]
	s_add_co_u32 s22, s22, s26
	s_cselect_b32 s0, -1, 0
	s_delay_alu instid0(SALU_CYCLE_1) | instskip(SKIP_1) | instid1(SALU_CYCLE_1)
	s_cmp_lg_u32 s0, 0
	s_add_co_ci_u32 s23, s23, s27
	s_mul_u64 s[24:25], s[24:25], s[22:23]
	s_delay_alu instid0(SALU_CYCLE_1)
	s_mul_hi_u32 s27, s22, s25
	s_mul_i32 s26, s22, s25
	s_mul_hi_u32 s28, s22, s24
	s_mul_i32 s9, s23, s24
	s_add_nc_u64 s[26:27], s[28:29], s[26:27]
	s_mul_hi_u32 s0, s23, s24
	s_mul_hi_u32 s21, s23, s25
	s_add_co_u32 s9, s26, s9
	s_add_co_ci_u32 s28, s27, s0
	s_mul_i32 s24, s23, s25
	s_add_co_ci_u32 s25, s21, 0
	s_delay_alu instid0(SALU_CYCLE_1) | instskip(NEXT) | instid1(SALU_CYCLE_1)
	s_add_nc_u64 s[24:25], s[28:29], s[24:25]
	s_add_co_u32 s0, s22, s24
	s_cselect_b32 s9, -1, 0
	v_mul_hi_u32 v20, v12, s0
	s_cmp_lg_u32 s9, 0
	s_add_co_ci_u32 s28, s23, s25
	s_mov_b64 s[22:23], 0xffffffff
	v_mul_u64_e32 v[16:17], s[28:29], v[12:13]
	s_and_b64 s[22:23], s[0:1], s[22:23]
	v_mul_u64_e32 v[18:19], s[28:29], v[14:15]
	v_mul_u64_e32 v[10:11], s[22:23], v[14:15]
	s_delay_alu instid0(VALU_DEP_3) | instskip(NEXT) | instid1(VALU_DEP_1)
	v_add_nc_u64_e32 v[16:17], v[20:21], v[16:17]
	v_add_co_u32 v1, vcc_lo, v16, v10
	s_delay_alu instid0(VALU_DEP_2) | instskip(SKIP_1) | instid1(VALU_DEP_1)
	v_add_co_ci_u32_e32 v2, vcc_lo, v17, v11, vcc_lo
	v_add_co_ci_u32_e32 v19, vcc_lo, 0, v19, vcc_lo
	v_add_nc_u64_e32 v[2:3], v[2:3], v[18:19]
	s_delay_alu instid0(VALU_DEP_1) | instskip(NEXT) | instid1(VALU_DEP_1)
	v_mul_u64_e32 v[10:11], s[14:15], v[2:3]
	v_sub_co_u32 v7, vcc_lo, v12, v10
	v_add_nc_u64_e32 v[12:13], 1, v[2:3]
	s_delay_alu instid0(VALU_DEP_3) | instskip(SKIP_1) | instid1(VALU_DEP_4)
	v_sub_nc_u32_e32 v1, v14, v11
	v_sub_co_ci_u32_e64 v14, null, v14, v11, vcc_lo
	v_sub_co_u32 v9, s0, v7, s14
	s_delay_alu instid0(VALU_DEP_3) | instskip(NEXT) | instid1(VALU_DEP_2)
	v_subrev_co_ci_u32_e64 v1, null, s15, v1, vcc_lo
	v_cmp_le_u32_e32 vcc_lo, s14, v9
	s_delay_alu instid0(VALU_DEP_2) | instskip(SKIP_1) | instid1(VALU_DEP_2)
	v_subrev_co_ci_u32_e64 v1, null, 0, v1, s0
	v_cndmask_b32_e64 v9, 0, -1, vcc_lo
	v_cmp_le_u32_e32 vcc_lo, s15, v1
	v_cndmask_b32_e64 v10, 0, -1, vcc_lo
	v_cmp_le_u32_e32 vcc_lo, s14, v7
	;; [unrolled: 2-line block ×3, first 2 shown]
	v_cndmask_b32_e64 v15, 0, -1, vcc_lo
	v_cmp_eq_u32_e32 vcc_lo, s15, v1
	v_cndmask_b32_e32 v1, v10, v9, vcc_lo
	v_cmp_eq_u32_e32 vcc_lo, s15, v14
	v_add_nc_u64_e32 v[10:11], 2, v[2:3]
	v_cndmask_b32_e32 v7, v15, v7, vcc_lo
	s_delay_alu instid0(VALU_DEP_4) | instskip(NEXT) | instid1(VALU_DEP_2)
	v_cmp_ne_u32_e32 vcc_lo, 0, v1
	v_cmp_ne_u32_e64 s0, 0, v7
	s_delay_alu instid0(VALU_DEP_4) | instskip(NEXT) | instid1(VALU_DEP_1)
	v_dual_cndmask_b32 v1, v13, v11, vcc_lo :: v_dual_cndmask_b32 v7, v12, v10, vcc_lo
                                        ; implicit-def: $vgpr10_vgpr11
	v_dual_cndmask_b32 v3, v3, v1, s0 :: v_dual_cndmask_b32 v2, v2, v7, s0
	s_delay_alu instid0(VALU_DEP_1) | instskip(NEXT) | instid1(VALU_DEP_2)
	v_dual_mov_b32 v1, v0 :: v_dual_bitop2_b32 v3, v3, v0 bitop3:0x14
	v_xor_b32_e32 v2, v2, v0
	s_delay_alu instid0(VALU_DEP_1)
	v_sub_nc_u64_e32 v[0:1], v[2:3], v[0:1]
.LBB7_89:
	s_and_not1_saveexec_b32 s0, s20
	s_cbranch_execz .LBB7_91
; %bb.90:
	v_cvt_f32_u32_e32 v0, s12
	s_sub_co_i32 s8, 0, s12
	s_delay_alu instid0(VALU_DEP_1) | instskip(SKIP_1) | instid1(TRANS32_DEP_1)
	v_rcp_iflag_f32_e32 v0, v0
	v_nop
	v_mul_f32_e32 v0, 0x4f7ffffe, v0
	s_delay_alu instid0(VALU_DEP_1) | instskip(NEXT) | instid1(VALU_DEP_1)
	v_cvt_u32_f32_e32 v0, v0
	v_mul_lo_u32 v1, s8, v0
	s_delay_alu instid0(VALU_DEP_1) | instskip(NEXT) | instid1(VALU_DEP_1)
	v_mul_hi_u32 v1, v0, v1
	v_add_nc_u32_e32 v0, v0, v1
	s_delay_alu instid0(VALU_DEP_1) | instskip(NEXT) | instid1(VALU_DEP_1)
	v_mul_hi_u32 v0, v10, v0
	v_mul_lo_u32 v1, v0, s12
	s_delay_alu instid0(VALU_DEP_1) | instskip(NEXT) | instid1(VALU_DEP_1)
	v_dual_add_nc_u32 v2, 1, v0 :: v_dual_sub_nc_u32 v1, v10, v1
	v_subrev_nc_u32_e32 v3, s12, v1
	v_cmp_le_u32_e32 vcc_lo, s12, v1
	s_delay_alu instid0(VALU_DEP_2) | instskip(NEXT) | instid1(VALU_DEP_1)
	v_dual_cndmask_b32 v1, v1, v3 :: v_dual_cndmask_b32 v0, v0, v2
	v_cmp_le_u32_e32 vcc_lo, s12, v1
	s_delay_alu instid0(VALU_DEP_2) | instskip(NEXT) | instid1(VALU_DEP_1)
	v_dual_mov_b32 v1, 0 :: v_dual_add_nc_u32 v2, 1, v0
	v_cndmask_b32_e32 v0, v0, v2, vcc_lo
.LBB7_91:
	s_or_b32 exec_lo, exec_lo, s0
.LBB7_92:
	s_delay_alu instid0(SALU_CYCLE_1) | instskip(SKIP_2) | instid1(VALU_DEP_1)
	s_or_b32 exec_lo, exec_lo, s1
	v_dual_mov_b32 v2, 0 :: v_dual_bitop2_b32 v3, s13, v5 bitop3:0x54
                                        ; implicit-def: $vgpr10_vgpr11
	s_mov_b32 s0, exec_lo
	v_cmpx_ne_u64_e32 0, v[2:3]
	s_xor_b32 s1, exec_lo, s0
	s_cbranch_execz .LBB7_94
; %bb.93:
	s_ashr_i32 s8, s13, 31
	s_mov_b32 s27, 0
	s_mov_b32 s9, s8
	v_dual_mov_b32 v15, v2 :: v_dual_ashrrev_i32 v10, 31, v5
	s_add_nc_u64 s[14:15], s[12:13], s[8:9]
	v_dual_mov_b32 v23, v2 :: v_dual_mov_b32 v3, v2
	s_xor_b64 s[14:15], s[14:15], s[8:9]
	s_delay_alu instid0(VALU_DEP_2) | instskip(SKIP_3) | instid1(VALU_DEP_1)
	v_mov_b32_e32 v11, v10
	s_cvt_f32_u32 s0, s14
	s_cvt_f32_u32 s9, s15
	s_sub_nc_u64 s[22:23], 0, s[14:15]
	v_add_nc_u64_e32 v[12:13], v[4:5], v[10:11]
	s_delay_alu instid0(SALU_CYCLE_1) | instskip(SKIP_1) | instid1(SALU_CYCLE_2)
	s_fmamk_f32 s0, s9, 0x4f800000, s0
	v_mov_b32_e32 v17, v2
	v_s_rcp_f32 s0, s0
	s_delay_alu instid0(VALU_DEP_2) | instskip(NEXT) | instid1(VALU_DEP_3)
	v_xor_b32_e32 v14, v12, v10
	v_xor_b32_e32 v16, v13, v10
	;; [unrolled: 1-line block ×3, first 2 shown]
	s_delay_alu instid0(TRANS32_DEP_1) | instskip(NEXT) | instid1(SALU_CYCLE_3)
	s_mul_f32 s0, s0, 0x5f7ffffc
	s_mul_f32 s9, s0, 0x2f800000
	s_delay_alu instid0(SALU_CYCLE_3) | instskip(NEXT) | instid1(SALU_CYCLE_3)
	s_trunc_f32 s9, s9
	s_fmamk_f32 s0, s9, 0xcf800000, s0
	s_cvt_u32_f32 s21, s9
	s_delay_alu instid0(SALU_CYCLE_2) | instskip(NEXT) | instid1(SALU_CYCLE_3)
	s_cvt_u32_f32 s20, s0
	s_mul_u64 s[24:25], s[22:23], s[20:21]
	s_delay_alu instid0(SALU_CYCLE_1)
	s_mul_hi_u32 s29, s20, s25
	s_mul_i32 s28, s20, s25
	s_mul_hi_u32 s26, s20, s24
	s_mul_i32 s9, s21, s24
	s_add_nc_u64 s[28:29], s[26:27], s[28:29]
	s_mul_hi_u32 s0, s21, s24
	s_mul_hi_u32 s30, s21, s25
	s_add_co_u32 s9, s28, s9
	s_add_co_ci_u32 s26, s29, s0
	s_mul_i32 s24, s21, s25
	s_add_co_ci_u32 s25, s30, 0
	s_delay_alu instid0(SALU_CYCLE_1) | instskip(NEXT) | instid1(SALU_CYCLE_1)
	s_add_nc_u64 s[24:25], s[26:27], s[24:25]
	s_add_co_u32 s20, s20, s24
	s_cselect_b32 s0, -1, 0
	s_delay_alu instid0(SALU_CYCLE_1) | instskip(SKIP_1) | instid1(SALU_CYCLE_1)
	s_cmp_lg_u32 s0, 0
	s_add_co_ci_u32 s21, s21, s25
	s_mul_u64 s[22:23], s[22:23], s[20:21]
	s_delay_alu instid0(SALU_CYCLE_1)
	s_mul_hi_u32 s25, s20, s23
	s_mul_i32 s24, s20, s23
	s_mul_hi_u32 s26, s20, s22
	s_mul_i32 s9, s21, s22
	s_add_nc_u64 s[24:25], s[26:27], s[24:25]
	s_mul_hi_u32 s0, s21, s22
	s_mul_hi_u32 s28, s21, s23
	s_add_co_u32 s9, s24, s9
	s_add_co_ci_u32 s26, s25, s0
	s_mul_i32 s22, s21, s23
	s_add_co_ci_u32 s23, s28, 0
	s_delay_alu instid0(SALU_CYCLE_1) | instskip(NEXT) | instid1(SALU_CYCLE_1)
	s_add_nc_u64 s[22:23], s[26:27], s[22:23]
	s_add_co_u32 s0, s20, s22
	s_cselect_b32 s9, -1, 0
	v_mul_hi_u32 v22, v14, s0
	s_cmp_lg_u32 s9, 0
	s_add_co_ci_u32 s26, s21, s23
	s_mov_b64 s[20:21], 0xffffffff
	v_mul_u64_e32 v[18:19], s[26:27], v[14:15]
	s_and_b64 s[20:21], s[0:1], s[20:21]
	v_mul_u64_e32 v[20:21], s[26:27], v[16:17]
	v_mul_u64_e32 v[12:13], s[20:21], v[16:17]
	s_delay_alu instid0(VALU_DEP_3) | instskip(NEXT) | instid1(VALU_DEP_1)
	v_add_nc_u64_e32 v[18:19], v[22:23], v[18:19]
	v_add_co_u32 v2, vcc_lo, v18, v12
	s_delay_alu instid0(VALU_DEP_2) | instskip(SKIP_1) | instid1(VALU_DEP_1)
	v_add_co_ci_u32_e32 v2, vcc_lo, v19, v13, vcc_lo
	v_add_co_ci_u32_e32 v21, vcc_lo, 0, v21, vcc_lo
	v_add_nc_u64_e32 v[2:3], v[2:3], v[20:21]
	s_delay_alu instid0(VALU_DEP_1) | instskip(NEXT) | instid1(VALU_DEP_1)
	v_mul_u64_e32 v[12:13], s[14:15], v[2:3]
	v_sub_co_u32 v9, vcc_lo, v14, v12
	v_add_nc_u64_e32 v[14:15], 1, v[2:3]
	s_delay_alu instid0(VALU_DEP_3) | instskip(SKIP_1) | instid1(VALU_DEP_4)
	v_sub_nc_u32_e32 v7, v16, v13
	v_sub_co_ci_u32_e64 v16, null, v16, v13, vcc_lo
	v_sub_co_u32 v11, s0, v9, s14
	s_delay_alu instid0(VALU_DEP_3) | instskip(NEXT) | instid1(VALU_DEP_2)
	v_subrev_co_ci_u32_e64 v7, null, s15, v7, vcc_lo
	v_cmp_le_u32_e32 vcc_lo, s14, v11
	s_delay_alu instid0(VALU_DEP_2) | instskip(SKIP_1) | instid1(VALU_DEP_2)
	v_subrev_co_ci_u32_e64 v7, null, 0, v7, s0
	v_cndmask_b32_e64 v11, 0, -1, vcc_lo
	v_cmp_le_u32_e32 vcc_lo, s15, v7
	v_cndmask_b32_e64 v12, 0, -1, vcc_lo
	v_cmp_le_u32_e32 vcc_lo, s14, v9
	;; [unrolled: 2-line block ×3, first 2 shown]
	v_cndmask_b32_e64 v17, 0, -1, vcc_lo
	v_cmp_eq_u32_e32 vcc_lo, s15, v7
	v_cndmask_b32_e32 v7, v12, v11, vcc_lo
	v_cmp_eq_u32_e32 vcc_lo, s15, v16
	v_add_nc_u64_e32 v[12:13], 2, v[2:3]
	v_cndmask_b32_e32 v9, v17, v9, vcc_lo
	s_delay_alu instid0(VALU_DEP_4) | instskip(NEXT) | instid1(VALU_DEP_2)
	v_cmp_ne_u32_e32 vcc_lo, 0, v7
	v_cmp_ne_u32_e64 s0, 0, v9
	s_delay_alu instid0(VALU_DEP_4) | instskip(NEXT) | instid1(VALU_DEP_1)
	v_dual_cndmask_b32 v7, v15, v13, vcc_lo :: v_dual_cndmask_b32 v9, v14, v12, vcc_lo
	v_dual_cndmask_b32 v3, v3, v7, s0 :: v_dual_cndmask_b32 v2, v2, v9, s0
	s_delay_alu instid0(VALU_DEP_1) | instskip(NEXT) | instid1(VALU_DEP_2)
	v_dual_mov_b32 v11, v10 :: v_dual_bitop2_b32 v3, v3, v10 bitop3:0x14
	v_xor_b32_e32 v2, v2, v10
	s_delay_alu instid0(VALU_DEP_1)
	v_sub_nc_u64_e32 v[10:11], v[2:3], v[10:11]
.LBB7_94:
	s_and_not1_saveexec_b32 s0, s1
	s_cbranch_execz .LBB7_96
; %bb.95:
	v_cvt_f32_u32_e32 v2, s12
	s_sub_co_i32 s1, 0, s12
	v_mov_b32_e32 v11, 0
	s_delay_alu instid0(VALU_DEP_2) | instskip(SKIP_1) | instid1(TRANS32_DEP_1)
	v_rcp_iflag_f32_e32 v2, v2
	v_nop
	v_mul_f32_e32 v2, 0x4f7ffffe, v2
	s_delay_alu instid0(VALU_DEP_1) | instskip(NEXT) | instid1(VALU_DEP_1)
	v_cvt_u32_f32_e32 v2, v2
	v_mul_lo_u32 v3, s1, v2
	s_delay_alu instid0(VALU_DEP_1) | instskip(NEXT) | instid1(VALU_DEP_1)
	v_mul_hi_u32 v3, v2, v3
	v_add_nc_u32_e32 v2, v2, v3
	s_delay_alu instid0(VALU_DEP_1) | instskip(NEXT) | instid1(VALU_DEP_1)
	v_mul_hi_u32 v2, v4, v2
	v_mul_lo_u32 v3, v2, s12
	s_delay_alu instid0(VALU_DEP_1) | instskip(NEXT) | instid1(VALU_DEP_1)
	v_dual_add_nc_u32 v7, 1, v2 :: v_dual_sub_nc_u32 v3, v4, v3
	v_subrev_nc_u32_e32 v9, s12, v3
	v_cmp_le_u32_e32 vcc_lo, s12, v3
	s_delay_alu instid0(VALU_DEP_2) | instskip(NEXT) | instid1(VALU_DEP_1)
	v_dual_cndmask_b32 v3, v3, v9 :: v_dual_cndmask_b32 v2, v2, v7
	v_cmp_le_u32_e32 vcc_lo, s12, v3
	s_delay_alu instid0(VALU_DEP_2) | instskip(NEXT) | instid1(VALU_DEP_1)
	v_add_nc_u32_e32 v7, 1, v2
	v_cndmask_b32_e32 v10, v2, v7, vcc_lo
.LBB7_96:
	s_or_b32 exec_lo, exec_lo, s0
	v_mul_u64_e32 v[2:3], s[12:13], v[0:1]
	s_delay_alu instid0(VALU_DEP_2) | instskip(SKIP_1) | instid1(VALU_DEP_2)
	v_min_i64 v[10:11], v[10:11], s[2:3]
	s_mov_b32 s2, 0
	v_add_nc_u64_e32 v[12:13], s[10:11], v[2:3]
	v_cmp_gt_i64_e32 vcc_lo, v[2:3], v[4:5]
	v_mov_b32_e32 v3, s2
	s_delay_alu instid0(VALU_DEP_3) | instskip(SKIP_1) | instid1(SALU_CYCLE_1)
	v_cmp_ge_i64_e64 s0, v[4:5], v[12:13]
	s_or_b32 s0, vcc_lo, s0
	v_cndmask_b32_e64 v2, 0, 1, s0
	s_delay_alu instid0(VALU_DEP_1) | instskip(NEXT) | instid1(VALU_DEP_1)
	v_add_nc_u64_e32 v[12:13], v[0:1], v[2:3]
	v_cmp_le_i64_e32 vcc_lo, v[12:13], v[10:11]
	s_and_b32 exec_lo, exec_lo, vcc_lo
	s_cbranch_execz .LBB7_99
; %bb.97:
	global_load_b128 v[0:3], v6, s[4:5]
	v_mul_u64_e32 v[14:15], s[12:13], v[12:13]
	v_mov_b32_e32 v7, 0
	s_mul_u64 s[0:1], s[12:13], s[18:19]
	s_delay_alu instid0(SALU_CYCLE_1) | instskip(NEXT) | instid1(VALU_DEP_1)
	s_lshl_b64 s[0:1], s[0:1], 4
	v_mov_b32_e32 v9, v7
	s_delay_alu instid0(VALU_DEP_3) | instskip(SKIP_1) | instid1(VALU_DEP_2)
	v_sub_nc_u64_e32 v[4:5], v[4:5], v[14:15]
	v_mul_u64_e32 v[14:15], s[16:17], v[12:13]
	v_mul_u64_e32 v[4:5], s[18:19], v[4:5]
	s_delay_alu instid0(VALU_DEP_2) | instskip(NEXT) | instid1(VALU_DEP_1)
	v_lshlrev_b64_e32 v[14:15], 4, v[14:15]
	v_lshl_add_u64 v[4:5], v[4:5], 4, v[14:15]
	s_delay_alu instid0(VALU_DEP_1) | instskip(NEXT) | instid1(VALU_DEP_1)
	v_add_nc_u64_e32 v[4:5], v[4:5], v[8:9]
	v_add_nc_u64_e32 v[8:9], s[6:7], v[4:5]
	;; [unrolled: 1-line block ×3, first 2 shown]
	s_wait_xcnt 0x0
	v_add_nc_u64_e32 v[6:7], -1, v[12:13]
	s_lshl_b64 s[4:5], s[16:17], 4
	s_delay_alu instid0(SALU_CYCLE_1) | instskip(NEXT) | instid1(VALU_DEP_3)
	s_sub_nc_u64 s[0:1], s[4:5], s[0:1]
	v_add_nc_u64_e32 v[8:9], 8, v[8:9]
.LBB7_98:                               ; =>This Inner Loop Header: Depth=1
	global_load_b128 v[12:15], v[8:9], off offset:-8
	v_add_nc_u64_e32 v[6:7], 1, v[6:7]
	s_wait_xcnt 0x0
	v_add_nc_u64_e32 v[8:9], s[0:1], v[8:9]
	s_delay_alu instid0(VALU_DEP_2)
	v_cmp_ge_i64_e32 vcc_lo, v[6:7], v[10:11]
	s_or_b32 s2, vcc_lo, s2
	s_wait_loadcnt 0x0
	v_add_f64_e32 v[0:1], v[0:1], v[12:13]
	v_add_f64_e32 v[2:3], v[2:3], v[14:15]
	global_store_b128 v[4:5], v[0:3], off
	s_wait_xcnt 0x0
	s_and_not1_b32 exec_lo, exec_lo, s2
	s_cbranch_execnz .LBB7_98
.LBB7_99:
	s_endpgm
	.section	.rodata,"a",@progbits
	.p2align	6, 0x0
	.amdhsa_kernel _ZN2at6native12_GLOBAL__N_135_unfold_backward_elementwise_kernelILi256ELi4EZNS1_32_unfold_backward_internal_kernelIN3c107complexIdEEEEvRNS_14TensorIteratorEllllllEUliE_EEviT1_
		.amdhsa_group_segment_fixed_size 0
		.amdhsa_private_segment_fixed_size 0
		.amdhsa_kernarg_size 464
		.amdhsa_user_sgpr_count 2
		.amdhsa_user_sgpr_dispatch_ptr 0
		.amdhsa_user_sgpr_queue_ptr 0
		.amdhsa_user_sgpr_kernarg_segment_ptr 1
		.amdhsa_user_sgpr_dispatch_id 0
		.amdhsa_user_sgpr_kernarg_preload_length 0
		.amdhsa_user_sgpr_kernarg_preload_offset 0
		.amdhsa_user_sgpr_private_segment_size 0
		.amdhsa_wavefront_size32 1
		.amdhsa_uses_dynamic_stack 0
		.amdhsa_enable_private_segment 0
		.amdhsa_system_sgpr_workgroup_id_x 1
		.amdhsa_system_sgpr_workgroup_id_y 0
		.amdhsa_system_sgpr_workgroup_id_z 0
		.amdhsa_system_sgpr_workgroup_info 0
		.amdhsa_system_vgpr_workitem_id 0
		.amdhsa_next_free_vgpr 28
		.amdhsa_next_free_sgpr 56
		.amdhsa_named_barrier_count 0
		.amdhsa_reserve_vcc 1
		.amdhsa_float_round_mode_32 0
		.amdhsa_float_round_mode_16_64 0
		.amdhsa_float_denorm_mode_32 3
		.amdhsa_float_denorm_mode_16_64 3
		.amdhsa_fp16_overflow 0
		.amdhsa_memory_ordered 1
		.amdhsa_forward_progress 1
		.amdhsa_inst_pref_size 77
		.amdhsa_round_robin_scheduling 0
		.amdhsa_exception_fp_ieee_invalid_op 0
		.amdhsa_exception_fp_denorm_src 0
		.amdhsa_exception_fp_ieee_div_zero 0
		.amdhsa_exception_fp_ieee_overflow 0
		.amdhsa_exception_fp_ieee_underflow 0
		.amdhsa_exception_fp_ieee_inexact 0
		.amdhsa_exception_int_div_zero 0
	.end_amdhsa_kernel
	.section	.text._ZN2at6native12_GLOBAL__N_135_unfold_backward_elementwise_kernelILi256ELi4EZNS1_32_unfold_backward_internal_kernelIN3c107complexIdEEEEvRNS_14TensorIteratorEllllllEUliE_EEviT1_,"axG",@progbits,_ZN2at6native12_GLOBAL__N_135_unfold_backward_elementwise_kernelILi256ELi4EZNS1_32_unfold_backward_internal_kernelIN3c107complexIdEEEEvRNS_14TensorIteratorEllllllEUliE_EEviT1_,comdat
.Lfunc_end7:
	.size	_ZN2at6native12_GLOBAL__N_135_unfold_backward_elementwise_kernelILi256ELi4EZNS1_32_unfold_backward_internal_kernelIN3c107complexIdEEEEvRNS_14TensorIteratorEllllllEUliE_EEviT1_, .Lfunc_end7-_ZN2at6native12_GLOBAL__N_135_unfold_backward_elementwise_kernelILi256ELi4EZNS1_32_unfold_backward_internal_kernelIN3c107complexIdEEEEvRNS_14TensorIteratorEllllllEUliE_EEviT1_
                                        ; -- End function
	.set _ZN2at6native12_GLOBAL__N_135_unfold_backward_elementwise_kernelILi256ELi4EZNS1_32_unfold_backward_internal_kernelIN3c107complexIdEEEEvRNS_14TensorIteratorEllllllEUliE_EEviT1_.num_vgpr, 28
	.set _ZN2at6native12_GLOBAL__N_135_unfold_backward_elementwise_kernelILi256ELi4EZNS1_32_unfold_backward_internal_kernelIN3c107complexIdEEEEvRNS_14TensorIteratorEllllllEUliE_EEviT1_.num_agpr, 0
	.set _ZN2at6native12_GLOBAL__N_135_unfold_backward_elementwise_kernelILi256ELi4EZNS1_32_unfold_backward_internal_kernelIN3c107complexIdEEEEvRNS_14TensorIteratorEllllllEUliE_EEviT1_.numbered_sgpr, 56
	.set _ZN2at6native12_GLOBAL__N_135_unfold_backward_elementwise_kernelILi256ELi4EZNS1_32_unfold_backward_internal_kernelIN3c107complexIdEEEEvRNS_14TensorIteratorEllllllEUliE_EEviT1_.num_named_barrier, 0
	.set _ZN2at6native12_GLOBAL__N_135_unfold_backward_elementwise_kernelILi256ELi4EZNS1_32_unfold_backward_internal_kernelIN3c107complexIdEEEEvRNS_14TensorIteratorEllllllEUliE_EEviT1_.private_seg_size, 0
	.set _ZN2at6native12_GLOBAL__N_135_unfold_backward_elementwise_kernelILi256ELi4EZNS1_32_unfold_backward_internal_kernelIN3c107complexIdEEEEvRNS_14TensorIteratorEllllllEUliE_EEviT1_.uses_vcc, 1
	.set _ZN2at6native12_GLOBAL__N_135_unfold_backward_elementwise_kernelILi256ELi4EZNS1_32_unfold_backward_internal_kernelIN3c107complexIdEEEEvRNS_14TensorIteratorEllllllEUliE_EEviT1_.uses_flat_scratch, 0
	.set _ZN2at6native12_GLOBAL__N_135_unfold_backward_elementwise_kernelILi256ELi4EZNS1_32_unfold_backward_internal_kernelIN3c107complexIdEEEEvRNS_14TensorIteratorEllllllEUliE_EEviT1_.has_dyn_sized_stack, 0
	.set _ZN2at6native12_GLOBAL__N_135_unfold_backward_elementwise_kernelILi256ELi4EZNS1_32_unfold_backward_internal_kernelIN3c107complexIdEEEEvRNS_14TensorIteratorEllllllEUliE_EEviT1_.has_recursion, 0
	.set _ZN2at6native12_GLOBAL__N_135_unfold_backward_elementwise_kernelILi256ELi4EZNS1_32_unfold_backward_internal_kernelIN3c107complexIdEEEEvRNS_14TensorIteratorEllllllEUliE_EEviT1_.has_indirect_call, 0
	.section	.AMDGPU.csdata,"",@progbits
; Kernel info:
; codeLenInByte = 9792
; TotalNumSgprs: 58
; NumVgprs: 28
; ScratchSize: 0
; MemoryBound: 0
; FloatMode: 240
; IeeeMode: 1
; LDSByteSize: 0 bytes/workgroup (compile time only)
; SGPRBlocks: 0
; VGPRBlocks: 1
; NumSGPRsForWavesPerEU: 58
; NumVGPRsForWavesPerEU: 28
; NamedBarCnt: 0
; Occupancy: 16
; WaveLimiterHint : 1
; COMPUTE_PGM_RSRC2:SCRATCH_EN: 0
; COMPUTE_PGM_RSRC2:USER_SGPR: 2
; COMPUTE_PGM_RSRC2:TRAP_HANDLER: 0
; COMPUTE_PGM_RSRC2:TGID_X_EN: 1
; COMPUTE_PGM_RSRC2:TGID_Y_EN: 0
; COMPUTE_PGM_RSRC2:TGID_Z_EN: 0
; COMPUTE_PGM_RSRC2:TIDIG_COMP_CNT: 0
	.section	.text._ZN2at6native12_GLOBAL__N_135_unfold_backward_elementwise_kernelILi256ELi4EZNS1_32_unfold_backward_internal_kernelIN3c107complexIfEEEEvRNS_14TensorIteratorEllllllEUliE_EEviT1_,"axG",@progbits,_ZN2at6native12_GLOBAL__N_135_unfold_backward_elementwise_kernelILi256ELi4EZNS1_32_unfold_backward_internal_kernelIN3c107complexIfEEEEvRNS_14TensorIteratorEllllllEUliE_EEviT1_,comdat
	.globl	_ZN2at6native12_GLOBAL__N_135_unfold_backward_elementwise_kernelILi256ELi4EZNS1_32_unfold_backward_internal_kernelIN3c107complexIfEEEEvRNS_14TensorIteratorEllllllEUliE_EEviT1_ ; -- Begin function _ZN2at6native12_GLOBAL__N_135_unfold_backward_elementwise_kernelILi256ELi4EZNS1_32_unfold_backward_internal_kernelIN3c107complexIfEEEEvRNS_14TensorIteratorEllllllEUliE_EEviT1_
	.p2align	8
	.type	_ZN2at6native12_GLOBAL__N_135_unfold_backward_elementwise_kernelILi256ELi4EZNS1_32_unfold_backward_internal_kernelIN3c107complexIfEEEEvRNS_14TensorIteratorEllllllEUliE_EEviT1_,@function
_ZN2at6native12_GLOBAL__N_135_unfold_backward_elementwise_kernelILi256ELi4EZNS1_32_unfold_backward_internal_kernelIN3c107complexIfEEEEvRNS_14TensorIteratorEllllllEUliE_EEviT1_: ; @_ZN2at6native12_GLOBAL__N_135_unfold_backward_elementwise_kernelILi256ELi4EZNS1_32_unfold_backward_internal_kernelIN3c107complexIfEEEEvRNS_14TensorIteratorEllllllEUliE_EEviT1_
; %bb.0:
	s_clause 0x2
	s_load_b128 s[20:23], s[0:1], 0x8
	s_load_b32 s31, s[0:1], 0x0
	s_load_b512 s[4:19], s[0:1], 0x190
	s_bfe_u32 s3, ttmp6, 0x4000c
	s_clause 0x2
	s_load_b96 s[28:30], s[0:1], 0x18
	s_load_b128 s[24:27], s[0:1], 0xcc
	s_load_b64 s[34:35], s[0:1], 0xdc
	s_add_co_i32 s3, s3, 1
	s_and_b32 s2, ttmp6, 15
	s_mul_i32 s3, ttmp9, s3
	s_getreg_b32 s33, hwreg(HW_REG_IB_STS2, 6, 4)
	s_add_co_i32 s2, s2, s3
	s_add_nc_u64 s[40:41], s[0:1], 8
	s_cmp_eq_u32 s33, 0
	s_mov_b32 s37, 0
	s_cselect_b32 s2, ttmp9, s2
	s_mov_b32 s42, -1
	v_lshl_or_b32 v0, s2, 10, v0
	s_mov_b32 s39, s37
	s_wait_kmcnt 0x0
	v_sub_co_u32 v1, s3, s20, 1
	s_mov_b32 s36, s22
	s_xor_b32 s33, s3, -1
	s_mov_b32 s38, s29
	v_readfirstlane_b32 s1, v1
	v_cmp_lt_u32_e32 vcc_lo, 1, v1
	s_add_nc_u64 s[2:3], s[14:15], -1
	s_mov_b32 s29, exec_lo
	s_min_u32 s22, s1, 15
	v_cndmask_b32_e64 v14, 0, 1, vcc_lo
	s_cmp_gt_u32 s20, 1
	s_cselect_b32 s20, -1, 0
	v_cmpx_gt_i32_e64 s31, v0
	s_cbranch_execnz .LBB8_4
; %bb.1:
	s_or_b32 exec_lo, exec_lo, s29
	s_delay_alu instid0(SALU_CYCLE_1)
	s_mov_b32 s29, exec_lo
	v_cmpx_gt_i32_e64 s31, v0
	s_cbranch_execnz .LBB8_28
.LBB8_2:
	s_or_b32 exec_lo, exec_lo, s29
	s_delay_alu instid0(SALU_CYCLE_1)
	s_mov_b32 s29, exec_lo
	v_cmpx_gt_i32_e64 s31, v0
	s_cbranch_execnz .LBB8_52
.LBB8_3:
	s_or_b32 exec_lo, exec_lo, s29
	s_delay_alu instid0(SALU_CYCLE_1)
	s_mov_b32 s0, exec_lo
	v_cmpx_gt_i32_e64 s31, v0
	s_cbranch_execnz .LBB8_76
	s_branch .LBB8_99
.LBB8_4:
	s_and_not1_b32 vcc_lo, exec_lo, vcc_lo
                                        ; implicit-def: $vgpr3
                                        ; implicit-def: $vgpr4
                                        ; implicit-def: $vgpr2
	s_cbranch_vccnz .LBB8_11
; %bb.5:
	v_dual_mov_b32 v3, 0 :: v_dual_mov_b32 v4, 0
	v_mov_b32_e32 v2, 0
	s_and_not1_b32 vcc_lo, exec_lo, s33
	s_cbranch_vccnz .LBB8_10
; %bb.6:
	v_dual_mov_b32 v2, 0 :: v_dual_mov_b32 v1, v0
	v_dual_mov_b32 v4, 0 :: v_dual_mov_b32 v3, 0
	s_add_co_i32 s14, s22, 1
	s_mov_b64 s[0:1], 0xffffffffffffffe8
	s_and_b32 s14, s14, 30
	s_add_nc_u64 s[0:1], s[40:41], s[0:1]
.LBB8_7:                                ; =>This Inner Loop Header: Depth=1
	s_clause 0x1
	s_load_b128 s[44:47], s[0:1], 0x1c
	s_load_b64 s[42:43], s[0:1], 0x2c
	s_add_co_i32 s14, s14, -2
	s_delay_alu instid0(SALU_CYCLE_1) | instskip(SKIP_2) | instid1(VALU_DEP_1)
	s_cmp_lg_u32 s14, 0
	s_wait_kmcnt 0x0
	v_mul_hi_u32 v5, s45, v1
	v_add_nc_u32_e32 v5, v1, v5
	s_delay_alu instid0(VALU_DEP_1) | instskip(NEXT) | instid1(VALU_DEP_1)
	v_lshrrev_b32_e32 v5, s46, v5
	v_mul_hi_u32 v6, s42, v5
	v_mul_lo_u32 v7, v5, s44
	s_clause 0x1
	s_load_b128 s[48:51], s[0:1], 0xdc
	s_load_b64 s[44:45], s[0:1], 0xec
	s_wait_xcnt 0x0
	s_add_nc_u64 s[0:1], s[0:1], 24
	s_delay_alu instid0(VALU_DEP_2) | instskip(NEXT) | instid1(VALU_DEP_1)
	v_add_nc_u32_e32 v6, v5, v6
	v_dual_sub_nc_u32 v7, v1, v7 :: v_dual_lshrrev_b32 v1, s43, v6
	s_wait_kmcnt 0x0
	s_delay_alu instid0(VALU_DEP_1) | instskip(NEXT) | instid1(VALU_DEP_2)
	v_mad_u32 v2, v7, s48, v2
	v_mul_lo_u32 v6, v1, s47
	v_mad_u32 v3, v7, s50, v3
	v_mad_u32 v4, v7, s49, v4
	s_delay_alu instid0(VALU_DEP_3) | instskip(NEXT) | instid1(VALU_DEP_1)
	v_sub_nc_u32_e32 v5, v5, v6
	v_mad_u32 v2, v5, s51, v2
	s_delay_alu instid0(VALU_DEP_4) | instskip(NEXT) | instid1(VALU_DEP_4)
	v_mad_u32 v3, v5, s45, v3
	v_mad_u32 v4, v5, s44, v4
	s_cbranch_scc1 .LBB8_7
; %bb.8:
	s_bitcmp1_b32 s22, 0
	s_cselect_b32 s14, -1, 0
	s_delay_alu instid0(SALU_CYCLE_1)
	s_and_b32 vcc_lo, exec_lo, s14
	s_cbranch_vccnz .LBB8_10
; %bb.9:
	s_clause 0x1
	s_load_b96 s[44:46], s[0:1], 0x1c
	s_load_b96 s[48:50], s[0:1], 0xdc
	s_wait_kmcnt 0x0
	v_mul_hi_u32 v5, s45, v1
	s_delay_alu instid0(VALU_DEP_1) | instskip(NEXT) | instid1(VALU_DEP_1)
	v_add_nc_u32_e32 v5, v1, v5
	v_lshrrev_b32_e32 v5, s46, v5
	s_delay_alu instid0(VALU_DEP_1) | instskip(NEXT) | instid1(VALU_DEP_1)
	v_mul_lo_u32 v5, v5, s44
	v_sub_nc_u32_e32 v1, v1, v5
	s_delay_alu instid0(VALU_DEP_1)
	v_mad_u32 v2, v1, s48, v2
	v_mad_u32 v4, v1, s49, v4
	;; [unrolled: 1-line block ×3, first 2 shown]
.LBB8_10:
	s_mov_b32 s42, 0
.LBB8_11:
	s_delay_alu instid0(SALU_CYCLE_1)
	s_and_not1_b32 vcc_lo, exec_lo, s42
	s_cbranch_vccnz .LBB8_14
; %bb.12:
	v_mov_b32_e32 v1, 0
	s_and_not1_b32 vcc_lo, exec_lo, s20
	s_delay_alu instid0(VALU_DEP_1) | instskip(NEXT) | instid1(VALU_DEP_1)
	v_mul_u64_e32 v[2:3], s[36:37], v[0:1]
	v_add_nc_u32_e32 v2, v0, v3
	s_delay_alu instid0(VALU_DEP_1) | instskip(NEXT) | instid1(VALU_DEP_1)
	v_lshrrev_b32_e32 v6, s23, v2
	v_mul_lo_u32 v2, v6, s21
	s_delay_alu instid0(VALU_DEP_1) | instskip(NEXT) | instid1(VALU_DEP_1)
	v_sub_nc_u32_e32 v4, v0, v2
	v_mul_lo_u32 v2, v4, s24
	v_mul_lo_u32 v3, v4, s26
	;; [unrolled: 1-line block ×3, first 2 shown]
	s_cbranch_vccnz .LBB8_14
; %bb.13:
	v_mov_b32_e32 v7, v1
	s_delay_alu instid0(VALU_DEP_1) | instskip(NEXT) | instid1(VALU_DEP_1)
	v_mul_u64_e32 v[8:9], s[38:39], v[6:7]
	v_add_nc_u32_e32 v1, v6, v9
	s_delay_alu instid0(VALU_DEP_1) | instskip(NEXT) | instid1(VALU_DEP_1)
	v_lshrrev_b32_e32 v1, s30, v1
	v_mul_lo_u32 v1, v1, s28
	s_delay_alu instid0(VALU_DEP_1) | instskip(NEXT) | instid1(VALU_DEP_1)
	v_sub_nc_u32_e32 v1, v6, v1
	v_mad_u32 v2, v1, s27, v2
	v_mad_u32 v4, v1, s34, v4
	;; [unrolled: 1-line block ×3, first 2 shown]
.LBB8_14:
	global_load_b64 v[6:7], v3, s[8:9]
	v_mov_b64_e32 v[8:9], 0
	s_mov_b32 s1, exec_lo
	s_wait_loadcnt 0x0
	v_cmpx_lt_i64_e64 s[10:11], v[6:7]
	s_cbranch_execz .LBB8_20
; %bb.15:
	v_sub_nc_u64_e64 v[12:13], v[6:7], s[10:11]
                                        ; implicit-def: $vgpr8_vgpr9
	s_mov_b32 s0, exec_lo
	s_delay_alu instid0(VALU_DEP_1) | instskip(NEXT) | instid1(VALU_DEP_1)
	v_dual_mov_b32 v10, 0 :: v_dual_bitop2_b32 v11, s13, v13 bitop3:0x54
	v_cmpx_ne_u64_e32 0, v[10:11]
	s_xor_b32 s44, exec_lo, s0
	s_cbranch_execz .LBB8_17
; %bb.16:
	s_ashr_i32 s14, s13, 31
	s_mov_b32 s53, 0
	s_mov_b32 s15, s14
	v_dual_mov_b32 v17, v10 :: v_dual_ashrrev_i32 v8, 31, v13
	s_add_nc_u64 s[42:43], s[12:13], s[14:15]
	v_mov_b32_e32 v19, v10
	s_xor_b64 s[42:43], s[42:43], s[14:15]
	s_delay_alu instid0(VALU_DEP_2)
	v_mov_b32_e32 v9, v8
	s_cvt_f32_u32 s0, s42
	s_cvt_f32_u32 s15, s43
	s_sub_nc_u64 s[48:49], 0, s[42:43]
	v_mov_b32_e32 v25, v10
	v_add_nc_u64_e32 v[12:13], v[12:13], v[8:9]
	s_fmamk_f32 s0, s15, 0x4f800000, s0
	v_mov_b32_e32 v11, v10
	s_delay_alu instid0(SALU_CYCLE_2) | instskip(NEXT) | instid1(VALU_DEP_2)
	v_s_rcp_f32 s0, s0
	v_xor_b32_e32 v16, v12, v8
	s_delay_alu instid0(VALU_DEP_3) | instskip(SKIP_1) | instid1(TRANS32_DEP_1)
	v_xor_b32_e32 v18, v13, v8
	v_xor_b32_e32 v8, s14, v8
	s_mul_f32 s0, s0, 0x5f7ffffc
	s_delay_alu instid0(SALU_CYCLE_3) | instskip(NEXT) | instid1(SALU_CYCLE_3)
	s_mul_f32 s15, s0, 0x2f800000
	s_trunc_f32 s15, s15
	s_delay_alu instid0(SALU_CYCLE_3) | instskip(SKIP_1) | instid1(SALU_CYCLE_2)
	s_fmamk_f32 s0, s15, 0xcf800000, s0
	s_cvt_u32_f32 s47, s15
	s_cvt_u32_f32 s46, s0
	s_delay_alu instid0(SALU_CYCLE_3) | instskip(NEXT) | instid1(SALU_CYCLE_1)
	s_mul_u64 s[50:51], s[48:49], s[46:47]
	s_mul_hi_u32 s55, s46, s51
	s_mul_i32 s54, s46, s51
	s_mul_hi_u32 s52, s46, s50
	s_mul_i32 s15, s47, s50
	s_add_nc_u64 s[54:55], s[52:53], s[54:55]
	s_mul_hi_u32 s0, s47, s50
	s_mul_hi_u32 s45, s47, s51
	s_add_co_u32 s15, s54, s15
	s_add_co_ci_u32 s52, s55, s0
	s_mul_i32 s50, s47, s51
	s_add_co_ci_u32 s51, s45, 0
	s_delay_alu instid0(SALU_CYCLE_1) | instskip(NEXT) | instid1(SALU_CYCLE_1)
	s_add_nc_u64 s[50:51], s[52:53], s[50:51]
	s_add_co_u32 s46, s46, s50
	s_cselect_b32 s0, -1, 0
	s_delay_alu instid0(SALU_CYCLE_1) | instskip(SKIP_1) | instid1(SALU_CYCLE_1)
	s_cmp_lg_u32 s0, 0
	s_add_co_ci_u32 s47, s47, s51
	s_mul_u64 s[48:49], s[48:49], s[46:47]
	s_delay_alu instid0(SALU_CYCLE_1)
	s_mul_hi_u32 s51, s46, s49
	s_mul_i32 s50, s46, s49
	s_mul_hi_u32 s52, s46, s48
	s_mul_i32 s15, s47, s48
	s_add_nc_u64 s[50:51], s[52:53], s[50:51]
	s_mul_hi_u32 s0, s47, s48
	s_mul_hi_u32 s45, s47, s49
	s_add_co_u32 s15, s50, s15
	s_add_co_ci_u32 s52, s51, s0
	s_mul_i32 s48, s47, s49
	s_add_co_ci_u32 s49, s45, 0
	s_delay_alu instid0(SALU_CYCLE_1) | instskip(NEXT) | instid1(SALU_CYCLE_1)
	s_add_nc_u64 s[48:49], s[52:53], s[48:49]
	s_add_co_u32 s0, s46, s48
	s_cselect_b32 s15, -1, 0
	v_mul_hi_u32 v24, v16, s0
	s_cmp_lg_u32 s15, 0
	s_add_co_ci_u32 s52, s47, s49
	s_mov_b64 s[46:47], 0xffffffff
	v_mul_u64_e32 v[20:21], s[52:53], v[16:17]
	s_and_b64 s[46:47], s[0:1], s[46:47]
	v_mul_u64_e32 v[22:23], s[52:53], v[18:19]
	v_mul_u64_e32 v[12:13], s[46:47], v[18:19]
	s_delay_alu instid0(VALU_DEP_3) | instskip(NEXT) | instid1(VALU_DEP_1)
	v_add_nc_u64_e32 v[20:21], v[24:25], v[20:21]
	v_add_co_u32 v1, vcc_lo, v20, v12
	s_delay_alu instid0(VALU_DEP_2) | instskip(SKIP_1) | instid1(VALU_DEP_1)
	v_add_co_ci_u32_e32 v10, vcc_lo, v21, v13, vcc_lo
	v_add_co_ci_u32_e32 v23, vcc_lo, 0, v23, vcc_lo
	v_add_nc_u64_e32 v[10:11], v[10:11], v[22:23]
	s_delay_alu instid0(VALU_DEP_1) | instskip(NEXT) | instid1(VALU_DEP_1)
	v_mul_u64_e32 v[12:13], s[42:43], v[10:11]
	v_sub_nc_u32_e32 v1, v18, v13
	s_delay_alu instid0(VALU_DEP_2) | instskip(NEXT) | instid1(VALU_DEP_1)
	v_sub_co_u32 v3, vcc_lo, v16, v12
	v_sub_co_ci_u32_e64 v9, null, v18, v13, vcc_lo
	s_delay_alu instid0(VALU_DEP_3) | instskip(NEXT) | instid1(VALU_DEP_3)
	v_subrev_co_ci_u32_e64 v1, null, s43, v1, vcc_lo
	v_sub_co_u32 v5, s0, v3, s42
	v_add_nc_u64_e32 v[16:17], 1, v[10:11]
	s_delay_alu instid0(VALU_DEP_3) | instskip(NEXT) | instid1(VALU_DEP_3)
	v_subrev_co_ci_u32_e64 v1, null, 0, v1, s0
	v_cmp_le_u32_e32 vcc_lo, s42, v5
	v_cndmask_b32_e64 v5, 0, -1, vcc_lo
	s_delay_alu instid0(VALU_DEP_3)
	v_cmp_le_u32_e32 vcc_lo, s43, v1
	v_cndmask_b32_e64 v12, 0, -1, vcc_lo
	v_cmp_le_u32_e32 vcc_lo, s42, v3
	v_cndmask_b32_e64 v3, 0, -1, vcc_lo
	;; [unrolled: 2-line block ×3, first 2 shown]
	v_cmp_eq_u32_e32 vcc_lo, s43, v1
	v_cndmask_b32_e32 v1, v12, v5, vcc_lo
	v_cmp_eq_u32_e32 vcc_lo, s43, v9
	v_add_nc_u64_e32 v[12:13], 2, v[10:11]
	v_cndmask_b32_e32 v3, v15, v3, vcc_lo
	s_delay_alu instid0(VALU_DEP_4) | instskip(NEXT) | instid1(VALU_DEP_2)
	v_cmp_ne_u32_e32 vcc_lo, 0, v1
	v_cmp_ne_u32_e64 s0, 0, v3
	s_delay_alu instid0(VALU_DEP_4) | instskip(NEXT) | instid1(VALU_DEP_1)
	v_dual_cndmask_b32 v1, v17, v13, vcc_lo :: v_dual_cndmask_b32 v3, v16, v12, vcc_lo
                                        ; implicit-def: $vgpr12_vgpr13
	v_dual_cndmask_b32 v1, v11, v1, s0 :: v_dual_cndmask_b32 v3, v10, v3, s0
	s_delay_alu instid0(VALU_DEP_1) | instskip(NEXT) | instid1(VALU_DEP_2)
	v_dual_mov_b32 v9, v8 :: v_dual_bitop2_b32 v11, v1, v8 bitop3:0x14
	v_xor_b32_e32 v10, v3, v8
	s_delay_alu instid0(VALU_DEP_1)
	v_sub_nc_u64_e32 v[8:9], v[10:11], v[8:9]
.LBB8_17:
	s_and_not1_saveexec_b32 s0, s44
	s_cbranch_execz .LBB8_19
; %bb.18:
	v_cvt_f32_u32_e32 v1, s12
	s_sub_co_i32 s14, 0, s12
	v_mov_b32_e32 v9, 0
	s_delay_alu instid0(VALU_DEP_2) | instskip(SKIP_1) | instid1(TRANS32_DEP_1)
	v_rcp_iflag_f32_e32 v1, v1
	v_nop
	v_mul_f32_e32 v1, 0x4f7ffffe, v1
	s_delay_alu instid0(VALU_DEP_1) | instskip(NEXT) | instid1(VALU_DEP_1)
	v_cvt_u32_f32_e32 v1, v1
	v_mul_lo_u32 v3, s14, v1
	s_delay_alu instid0(VALU_DEP_1) | instskip(NEXT) | instid1(VALU_DEP_1)
	v_mul_hi_u32 v3, v1, v3
	v_add_nc_u32_e32 v1, v1, v3
	s_delay_alu instid0(VALU_DEP_1) | instskip(NEXT) | instid1(VALU_DEP_1)
	v_mul_hi_u32 v1, v12, v1
	v_mul_lo_u32 v3, v1, s12
	s_delay_alu instid0(VALU_DEP_1) | instskip(NEXT) | instid1(VALU_DEP_1)
	v_sub_nc_u32_e32 v3, v12, v3
	v_subrev_nc_u32_e32 v8, s12, v3
	v_cmp_le_u32_e32 vcc_lo, s12, v3
	s_delay_alu instid0(VALU_DEP_2) | instskip(NEXT) | instid1(VALU_DEP_1)
	v_dual_add_nc_u32 v5, 1, v1 :: v_dual_cndmask_b32 v3, v3, v8, vcc_lo
	v_cndmask_b32_e32 v1, v1, v5, vcc_lo
	s_delay_alu instid0(VALU_DEP_2) | instskip(NEXT) | instid1(VALU_DEP_2)
	v_cmp_le_u32_e32 vcc_lo, s12, v3
	v_add_nc_u32_e32 v5, 1, v1
	s_delay_alu instid0(VALU_DEP_1)
	v_cndmask_b32_e32 v8, v1, v5, vcc_lo
.LBB8_19:
	s_or_b32 exec_lo, exec_lo, s0
.LBB8_20:
	s_delay_alu instid0(SALU_CYCLE_1) | instskip(SKIP_2) | instid1(VALU_DEP_1)
	s_or_b32 exec_lo, exec_lo, s1
	v_dual_mov_b32 v10, 0 :: v_dual_bitop2_b32 v11, s13, v7 bitop3:0x54
                                        ; implicit-def: $vgpr12_vgpr13
	s_mov_b32 s0, exec_lo
	v_cmpx_ne_u64_e32 0, v[10:11]
	s_xor_b32 s1, exec_lo, s0
	s_cbranch_execz .LBB8_22
; %bb.21:
	s_ashr_i32 s14, s13, 31
	s_mov_b32 s51, 0
	s_mov_b32 s15, s14
	v_dual_mov_b32 v19, v10 :: v_dual_ashrrev_i32 v12, 31, v7
	s_add_nc_u64 s[42:43], s[12:13], s[14:15]
	v_mov_b32_e32 v21, v10
	s_xor_b64 s[42:43], s[42:43], s[14:15]
	s_delay_alu instid0(VALU_DEP_2)
	v_mov_b32_e32 v13, v12
	s_cvt_f32_u32 s0, s42
	s_cvt_f32_u32 s15, s43
	s_sub_nc_u64 s[46:47], 0, s[42:43]
	v_mov_b32_e32 v27, v10
	v_add_nc_u64_e32 v[16:17], v[6:7], v[12:13]
	s_fmamk_f32 s0, s15, 0x4f800000, s0
	v_mov_b32_e32 v11, v10
	s_delay_alu instid0(SALU_CYCLE_2) | instskip(NEXT) | instid1(VALU_DEP_2)
	v_s_rcp_f32 s0, s0
	v_xor_b32_e32 v18, v16, v12
	s_delay_alu instid0(VALU_DEP_3) | instskip(SKIP_1) | instid1(TRANS32_DEP_1)
	v_xor_b32_e32 v20, v17, v12
	v_xor_b32_e32 v12, s14, v12
	s_mul_f32 s0, s0, 0x5f7ffffc
	s_delay_alu instid0(SALU_CYCLE_3) | instskip(NEXT) | instid1(SALU_CYCLE_3)
	s_mul_f32 s15, s0, 0x2f800000
	s_trunc_f32 s15, s15
	s_delay_alu instid0(SALU_CYCLE_3) | instskip(SKIP_1) | instid1(SALU_CYCLE_2)
	s_fmamk_f32 s0, s15, 0xcf800000, s0
	s_cvt_u32_f32 s45, s15
	s_cvt_u32_f32 s44, s0
	s_delay_alu instid0(SALU_CYCLE_3) | instskip(NEXT) | instid1(SALU_CYCLE_1)
	s_mul_u64 s[48:49], s[46:47], s[44:45]
	s_mul_hi_u32 s53, s44, s49
	s_mul_i32 s52, s44, s49
	s_mul_hi_u32 s50, s44, s48
	s_mul_i32 s15, s45, s48
	s_add_nc_u64 s[52:53], s[50:51], s[52:53]
	s_mul_hi_u32 s0, s45, s48
	s_mul_hi_u32 s54, s45, s49
	s_add_co_u32 s15, s52, s15
	s_add_co_ci_u32 s50, s53, s0
	s_mul_i32 s48, s45, s49
	s_add_co_ci_u32 s49, s54, 0
	s_delay_alu instid0(SALU_CYCLE_1) | instskip(NEXT) | instid1(SALU_CYCLE_1)
	s_add_nc_u64 s[48:49], s[50:51], s[48:49]
	s_add_co_u32 s44, s44, s48
	s_cselect_b32 s0, -1, 0
	s_delay_alu instid0(SALU_CYCLE_1) | instskip(SKIP_1) | instid1(SALU_CYCLE_1)
	s_cmp_lg_u32 s0, 0
	s_add_co_ci_u32 s45, s45, s49
	s_mul_u64 s[46:47], s[46:47], s[44:45]
	s_delay_alu instid0(SALU_CYCLE_1)
	s_mul_hi_u32 s49, s44, s47
	s_mul_i32 s48, s44, s47
	s_mul_hi_u32 s50, s44, s46
	s_mul_i32 s15, s45, s46
	s_add_nc_u64 s[48:49], s[50:51], s[48:49]
	s_mul_hi_u32 s0, s45, s46
	s_mul_hi_u32 s52, s45, s47
	s_add_co_u32 s15, s48, s15
	s_add_co_ci_u32 s50, s49, s0
	s_mul_i32 s46, s45, s47
	s_add_co_ci_u32 s47, s52, 0
	s_delay_alu instid0(SALU_CYCLE_1) | instskip(NEXT) | instid1(SALU_CYCLE_1)
	s_add_nc_u64 s[46:47], s[50:51], s[46:47]
	s_add_co_u32 s0, s44, s46
	s_cselect_b32 s15, -1, 0
	v_mul_hi_u32 v26, v18, s0
	s_cmp_lg_u32 s15, 0
	s_add_co_ci_u32 s50, s45, s47
	s_mov_b64 s[44:45], 0xffffffff
	v_mul_u64_e32 v[22:23], s[50:51], v[18:19]
	s_and_b64 s[44:45], s[0:1], s[44:45]
	v_mul_u64_e32 v[24:25], s[50:51], v[20:21]
	v_mul_u64_e32 v[16:17], s[44:45], v[20:21]
	s_delay_alu instid0(VALU_DEP_3) | instskip(NEXT) | instid1(VALU_DEP_1)
	v_add_nc_u64_e32 v[22:23], v[26:27], v[22:23]
	v_add_co_u32 v1, vcc_lo, v22, v16
	s_delay_alu instid0(VALU_DEP_2) | instskip(SKIP_1) | instid1(VALU_DEP_1)
	v_add_co_ci_u32_e32 v10, vcc_lo, v23, v17, vcc_lo
	v_add_co_ci_u32_e32 v25, vcc_lo, 0, v25, vcc_lo
	v_add_nc_u64_e32 v[10:11], v[10:11], v[24:25]
	s_delay_alu instid0(VALU_DEP_1) | instskip(NEXT) | instid1(VALU_DEP_1)
	v_mul_u64_e32 v[16:17], s[42:43], v[10:11]
	v_sub_nc_u32_e32 v1, v20, v17
	s_delay_alu instid0(VALU_DEP_2) | instskip(NEXT) | instid1(VALU_DEP_1)
	v_sub_co_u32 v3, vcc_lo, v18, v16
	v_sub_co_ci_u32_e64 v13, null, v20, v17, vcc_lo
	s_delay_alu instid0(VALU_DEP_3) | instskip(NEXT) | instid1(VALU_DEP_3)
	v_subrev_co_ci_u32_e64 v1, null, s43, v1, vcc_lo
	v_sub_co_u32 v5, s0, v3, s42
	v_add_nc_u64_e32 v[16:17], 2, v[10:11]
	s_delay_alu instid0(VALU_DEP_3) | instskip(NEXT) | instid1(VALU_DEP_3)
	v_subrev_co_ci_u32_e64 v1, null, 0, v1, s0
	v_cmp_le_u32_e32 vcc_lo, s42, v5
	v_add_nc_u64_e32 v[18:19], 1, v[10:11]
	v_cndmask_b32_e64 v5, 0, -1, vcc_lo
	s_delay_alu instid0(VALU_DEP_4)
	v_cmp_le_u32_e32 vcc_lo, s43, v1
	v_cndmask_b32_e64 v15, 0, -1, vcc_lo
	v_cmp_le_u32_e32 vcc_lo, s42, v3
	v_cndmask_b32_e64 v3, 0, -1, vcc_lo
	;; [unrolled: 2-line block ×3, first 2 shown]
	v_cmp_eq_u32_e32 vcc_lo, s43, v1
	v_cndmask_b32_e32 v1, v15, v5, vcc_lo
	v_cmp_eq_u32_e32 vcc_lo, s43, v13
	s_delay_alu instid0(VALU_DEP_4) | instskip(NEXT) | instid1(VALU_DEP_3)
	v_cndmask_b32_e32 v3, v20, v3, vcc_lo
	v_cmp_ne_u32_e32 vcc_lo, 0, v1
	s_delay_alu instid0(VALU_DEP_2) | instskip(SKIP_1) | instid1(VALU_DEP_1)
	v_cmp_ne_u32_e64 s0, 0, v3
	v_dual_cndmask_b32 v1, v19, v17, vcc_lo :: v_dual_cndmask_b32 v3, v18, v16, vcc_lo
	v_dual_cndmask_b32 v1, v11, v1, s0 :: v_dual_cndmask_b32 v3, v10, v3, s0
	s_delay_alu instid0(VALU_DEP_1) | instskip(NEXT) | instid1(VALU_DEP_2)
	v_dual_mov_b32 v13, v12 :: v_dual_bitop2_b32 v11, v1, v12 bitop3:0x14
	v_xor_b32_e32 v10, v3, v12
	s_delay_alu instid0(VALU_DEP_1)
	v_sub_nc_u64_e32 v[12:13], v[10:11], v[12:13]
.LBB8_22:
	s_and_not1_saveexec_b32 s0, s1
	s_cbranch_execz .LBB8_24
; %bb.23:
	v_cvt_f32_u32_e32 v1, s12
	s_sub_co_i32 s1, 0, s12
	v_mov_b32_e32 v13, 0
	s_delay_alu instid0(VALU_DEP_2) | instskip(SKIP_1) | instid1(TRANS32_DEP_1)
	v_rcp_iflag_f32_e32 v1, v1
	v_nop
	v_mul_f32_e32 v1, 0x4f7ffffe, v1
	s_delay_alu instid0(VALU_DEP_1) | instskip(NEXT) | instid1(VALU_DEP_1)
	v_cvt_u32_f32_e32 v1, v1
	v_mul_lo_u32 v3, s1, v1
	s_delay_alu instid0(VALU_DEP_1) | instskip(NEXT) | instid1(VALU_DEP_1)
	v_mul_hi_u32 v3, v1, v3
	v_add_nc_u32_e32 v1, v1, v3
	s_delay_alu instid0(VALU_DEP_1) | instskip(NEXT) | instid1(VALU_DEP_1)
	v_mul_hi_u32 v1, v6, v1
	v_mul_lo_u32 v3, v1, s12
	s_delay_alu instid0(VALU_DEP_1) | instskip(NEXT) | instid1(VALU_DEP_1)
	v_sub_nc_u32_e32 v3, v6, v3
	v_subrev_nc_u32_e32 v10, s12, v3
	v_cmp_le_u32_e32 vcc_lo, s12, v3
	s_delay_alu instid0(VALU_DEP_2) | instskip(NEXT) | instid1(VALU_DEP_1)
	v_dual_add_nc_u32 v5, 1, v1 :: v_dual_cndmask_b32 v3, v3, v10, vcc_lo
	v_cndmask_b32_e32 v1, v1, v5, vcc_lo
	s_delay_alu instid0(VALU_DEP_2) | instskip(NEXT) | instid1(VALU_DEP_2)
	v_cmp_le_u32_e32 vcc_lo, s12, v3
	v_add_nc_u32_e32 v5, 1, v1
	s_delay_alu instid0(VALU_DEP_1)
	v_cndmask_b32_e32 v12, v1, v5, vcc_lo
.LBB8_24:
	s_or_b32 exec_lo, exec_lo, s0
	v_mul_u64_e32 v[16:17], s[12:13], v[8:9]
	s_delay_alu instid0(VALU_DEP_2) | instskip(SKIP_2) | instid1(VALU_DEP_2)
	v_min_i64 v[10:11], v[12:13], s[2:3]
	s_mov_b32 s14, 0
	s_mov_b32 s15, exec_lo
	v_add_nc_u64_e32 v[12:13], s[10:11], v[16:17]
	v_cmp_gt_i64_e32 vcc_lo, v[16:17], v[6:7]
	s_delay_alu instid0(VALU_DEP_2) | instskip(SKIP_2) | instid1(SALU_CYCLE_1)
	v_cmp_ge_i64_e64 s0, v[6:7], v[12:13]
	v_mov_b32_e32 v13, s14
	s_or_b32 s0, vcc_lo, s0
	v_cndmask_b32_e64 v12, 0, 1, s0
	s_delay_alu instid0(VALU_DEP_1) | instskip(NEXT) | instid1(VALU_DEP_1)
	v_add_nc_u64_e32 v[12:13], v[8:9], v[12:13]
	v_cmpx_le_i64_e64 v[12:13], v[10:11]
	s_cbranch_execz .LBB8_27
; %bb.25:
	global_load_b64 v[8:9], v2, s[4:5]
	v_mul_u64_e32 v[16:17], s[12:13], v[12:13]
	v_mov_b32_e32 v3, 0
	s_mul_u64 s[0:1], s[12:13], s[18:19]
	s_lshl_b64 s[42:43], s[16:17], 3
	s_lshl_b64 s[0:1], s[0:1], 3
	s_delay_alu instid0(VALU_DEP_1) | instskip(SKIP_3) | instid1(VALU_DEP_4)
	v_mov_b32_e32 v5, v3
	s_wait_xcnt 0x0
	v_add_nc_u64_e32 v[2:3], s[4:5], v[2:3]
	s_sub_nc_u64 s[0:1], s[42:43], s[0:1]
	v_sub_nc_u64_e32 v[6:7], v[6:7], v[16:17]
	v_mul_u64_e32 v[16:17], s[16:17], v[12:13]
	s_delay_alu instid0(VALU_DEP_2) | instskip(NEXT) | instid1(VALU_DEP_2)
	v_mul_u64_e32 v[6:7], s[18:19], v[6:7]
	v_lshlrev_b64_e32 v[16:17], 3, v[16:17]
	s_delay_alu instid0(VALU_DEP_1) | instskip(NEXT) | instid1(VALU_DEP_1)
	v_lshl_add_u64 v[6:7], v[6:7], 3, v[16:17]
	v_add_nc_u64_e32 v[6:7], v[6:7], v[4:5]
	v_add_nc_u64_e32 v[4:5], -1, v[12:13]
	s_delay_alu instid0(VALU_DEP_2)
	v_add_nc_u64_e32 v[6:7], s[6:7], v[6:7]
.LBB8_26:                               ; =>This Inner Loop Header: Depth=1
	global_load_b64 v[12:13], v[6:7], off
	v_add_nc_u64_e32 v[4:5], 1, v[4:5]
	s_wait_xcnt 0x0
	v_add_nc_u64_e32 v[6:7], s[0:1], v[6:7]
	s_delay_alu instid0(VALU_DEP_2)
	v_cmp_ge_i64_e32 vcc_lo, v[4:5], v[10:11]
	s_or_b32 s14, vcc_lo, s14
	s_wait_loadcnt 0x0
	v_pk_add_f32 v[8:9], v[8:9], v[12:13]
	global_store_b64 v[2:3], v[8:9], off
	s_wait_xcnt 0x0
	s_and_not1_b32 exec_lo, exec_lo, s14
	s_cbranch_execnz .LBB8_26
.LBB8_27:
	s_or_b32 exec_lo, exec_lo, s15
	v_add_nc_u32_e32 v0, 0x100, v0
	s_or_b32 exec_lo, exec_lo, s29
	s_delay_alu instid0(SALU_CYCLE_1) | instskip(NEXT) | instid1(VALU_DEP_1)
	s_mov_b32 s29, exec_lo
	v_cmpx_gt_i32_e64 s31, v0
	s_cbranch_execz .LBB8_2
.LBB8_28:
	v_cmp_ne_u32_e32 vcc_lo, 1, v14
	s_cbranch_vccnz .LBB8_35
; %bb.29:
	v_dual_mov_b32 v3, 0 :: v_dual_mov_b32 v4, 0
	v_mov_b32_e32 v2, 0
	s_and_not1_b32 vcc_lo, exec_lo, s33
	s_cbranch_vccnz .LBB8_34
; %bb.30:
	v_dual_mov_b32 v2, 0 :: v_dual_mov_b32 v1, v0
	v_dual_mov_b32 v4, 0 :: v_dual_mov_b32 v3, 0
	s_add_co_i32 s14, s22, 1
	s_mov_b64 s[0:1], 0xffffffffffffffe8
	s_and_b32 s14, s14, 30
	s_add_nc_u64 s[0:1], s[40:41], s[0:1]
.LBB8_31:                               ; =>This Inner Loop Header: Depth=1
	s_clause 0x1
	s_load_b128 s[44:47], s[0:1], 0x1c
	s_load_b64 s[42:43], s[0:1], 0x2c
	s_add_co_i32 s14, s14, -2
	s_delay_alu instid0(SALU_CYCLE_1) | instskip(SKIP_2) | instid1(VALU_DEP_1)
	s_cmp_eq_u32 s14, 0
	s_wait_kmcnt 0x0
	v_mul_hi_u32 v5, s45, v1
	v_add_nc_u32_e32 v5, v1, v5
	s_delay_alu instid0(VALU_DEP_1) | instskip(NEXT) | instid1(VALU_DEP_1)
	v_lshrrev_b32_e32 v5, s46, v5
	v_mul_hi_u32 v6, s42, v5
	v_mul_lo_u32 v7, v5, s44
	s_clause 0x1
	s_load_b128 s[48:51], s[0:1], 0xdc
	s_load_b64 s[44:45], s[0:1], 0xec
	s_wait_xcnt 0x0
	s_add_nc_u64 s[0:1], s[0:1], 24
	s_delay_alu instid0(VALU_DEP_2) | instskip(NEXT) | instid1(VALU_DEP_1)
	v_add_nc_u32_e32 v6, v5, v6
	v_dual_sub_nc_u32 v7, v1, v7 :: v_dual_lshrrev_b32 v1, s43, v6
	s_wait_kmcnt 0x0
	s_delay_alu instid0(VALU_DEP_1) | instskip(NEXT) | instid1(VALU_DEP_2)
	v_mad_u32 v2, v7, s48, v2
	v_mul_lo_u32 v6, v1, s47
	v_mad_u32 v3, v7, s50, v3
	v_mad_u32 v4, v7, s49, v4
	s_delay_alu instid0(VALU_DEP_3) | instskip(NEXT) | instid1(VALU_DEP_1)
	v_sub_nc_u32_e32 v5, v5, v6
	v_mad_u32 v2, v5, s51, v2
	s_delay_alu instid0(VALU_DEP_4) | instskip(NEXT) | instid1(VALU_DEP_4)
	v_mad_u32 v3, v5, s45, v3
	v_mad_u32 v4, v5, s44, v4
	s_cbranch_scc0 .LBB8_31
; %bb.32:
	s_bitcmp1_b32 s22, 0
	s_cselect_b32 s14, -1, 0
	s_delay_alu instid0(SALU_CYCLE_1)
	s_and_b32 vcc_lo, exec_lo, s14
	s_cbranch_vccnz .LBB8_34
; %bb.33:
	s_clause 0x1
	s_load_b96 s[44:46], s[0:1], 0x1c
	s_load_b96 s[48:50], s[0:1], 0xdc
	s_wait_kmcnt 0x0
	v_mul_hi_u32 v5, s45, v1
	s_delay_alu instid0(VALU_DEP_1) | instskip(NEXT) | instid1(VALU_DEP_1)
	v_add_nc_u32_e32 v5, v1, v5
	v_lshrrev_b32_e32 v5, s46, v5
	s_delay_alu instid0(VALU_DEP_1) | instskip(NEXT) | instid1(VALU_DEP_1)
	v_mul_lo_u32 v5, v5, s44
	v_sub_nc_u32_e32 v1, v1, v5
	s_delay_alu instid0(VALU_DEP_1)
	v_mad_u32 v2, v1, s48, v2
	v_mad_u32 v4, v1, s49, v4
	;; [unrolled: 1-line block ×3, first 2 shown]
.LBB8_34:
	s_cbranch_execz .LBB8_36
	s_branch .LBB8_38
.LBB8_35:
                                        ; implicit-def: $vgpr3
                                        ; implicit-def: $vgpr4
                                        ; implicit-def: $vgpr2
.LBB8_36:
	v_mov_b32_e32 v1, 0
	s_and_not1_b32 vcc_lo, exec_lo, s20
	s_delay_alu instid0(VALU_DEP_1) | instskip(NEXT) | instid1(VALU_DEP_1)
	v_mul_u64_e32 v[2:3], s[36:37], v[0:1]
	v_add_nc_u32_e32 v2, v0, v3
	s_delay_alu instid0(VALU_DEP_1) | instskip(NEXT) | instid1(VALU_DEP_1)
	v_lshrrev_b32_e32 v6, s23, v2
	v_mul_lo_u32 v2, v6, s21
	s_delay_alu instid0(VALU_DEP_1) | instskip(NEXT) | instid1(VALU_DEP_1)
	v_sub_nc_u32_e32 v4, v0, v2
	v_mul_lo_u32 v2, v4, s24
	v_mul_lo_u32 v3, v4, s26
	;; [unrolled: 1-line block ×3, first 2 shown]
	s_cbranch_vccnz .LBB8_38
; %bb.37:
	v_mov_b32_e32 v7, v1
	s_delay_alu instid0(VALU_DEP_1) | instskip(NEXT) | instid1(VALU_DEP_1)
	v_mul_u64_e32 v[8:9], s[38:39], v[6:7]
	v_add_nc_u32_e32 v1, v6, v9
	s_delay_alu instid0(VALU_DEP_1) | instskip(NEXT) | instid1(VALU_DEP_1)
	v_lshrrev_b32_e32 v1, s30, v1
	v_mul_lo_u32 v1, v1, s28
	s_delay_alu instid0(VALU_DEP_1) | instskip(NEXT) | instid1(VALU_DEP_1)
	v_sub_nc_u32_e32 v1, v6, v1
	v_mad_u32 v2, v1, s27, v2
	v_mad_u32 v4, v1, s34, v4
	;; [unrolled: 1-line block ×3, first 2 shown]
.LBB8_38:
	global_load_b64 v[6:7], v3, s[8:9]
	v_mov_b64_e32 v[8:9], 0
	s_mov_b32 s1, exec_lo
	s_wait_loadcnt 0x0
	v_cmpx_lt_i64_e64 s[10:11], v[6:7]
	s_cbranch_execz .LBB8_44
; %bb.39:
	v_sub_nc_u64_e64 v[12:13], v[6:7], s[10:11]
                                        ; implicit-def: $vgpr8_vgpr9
	s_mov_b32 s0, exec_lo
	s_delay_alu instid0(VALU_DEP_1) | instskip(NEXT) | instid1(VALU_DEP_1)
	v_dual_mov_b32 v10, 0 :: v_dual_bitop2_b32 v11, s13, v13 bitop3:0x54
	v_cmpx_ne_u64_e32 0, v[10:11]
	s_xor_b32 s44, exec_lo, s0
	s_cbranch_execz .LBB8_41
; %bb.40:
	s_ashr_i32 s14, s13, 31
	s_mov_b32 s53, 0
	s_mov_b32 s15, s14
	v_dual_mov_b32 v17, v10 :: v_dual_ashrrev_i32 v8, 31, v13
	s_add_nc_u64 s[42:43], s[12:13], s[14:15]
	v_mov_b32_e32 v19, v10
	s_xor_b64 s[42:43], s[42:43], s[14:15]
	s_delay_alu instid0(VALU_DEP_2)
	v_mov_b32_e32 v9, v8
	s_cvt_f32_u32 s0, s42
	s_cvt_f32_u32 s15, s43
	s_sub_nc_u64 s[48:49], 0, s[42:43]
	v_mov_b32_e32 v25, v10
	v_add_nc_u64_e32 v[12:13], v[12:13], v[8:9]
	s_fmamk_f32 s0, s15, 0x4f800000, s0
	v_mov_b32_e32 v11, v10
	s_delay_alu instid0(SALU_CYCLE_2) | instskip(NEXT) | instid1(VALU_DEP_2)
	v_s_rcp_f32 s0, s0
	v_xor_b32_e32 v16, v12, v8
	s_delay_alu instid0(VALU_DEP_3) | instskip(SKIP_1) | instid1(TRANS32_DEP_1)
	v_xor_b32_e32 v18, v13, v8
	v_xor_b32_e32 v8, s14, v8
	s_mul_f32 s0, s0, 0x5f7ffffc
	s_delay_alu instid0(SALU_CYCLE_3) | instskip(NEXT) | instid1(SALU_CYCLE_3)
	s_mul_f32 s15, s0, 0x2f800000
	s_trunc_f32 s15, s15
	s_delay_alu instid0(SALU_CYCLE_3) | instskip(SKIP_1) | instid1(SALU_CYCLE_2)
	s_fmamk_f32 s0, s15, 0xcf800000, s0
	s_cvt_u32_f32 s47, s15
	s_cvt_u32_f32 s46, s0
	s_delay_alu instid0(SALU_CYCLE_3) | instskip(NEXT) | instid1(SALU_CYCLE_1)
	s_mul_u64 s[50:51], s[48:49], s[46:47]
	s_mul_hi_u32 s55, s46, s51
	s_mul_i32 s54, s46, s51
	s_mul_hi_u32 s52, s46, s50
	s_mul_i32 s15, s47, s50
	s_add_nc_u64 s[54:55], s[52:53], s[54:55]
	s_mul_hi_u32 s0, s47, s50
	s_mul_hi_u32 s45, s47, s51
	s_add_co_u32 s15, s54, s15
	s_add_co_ci_u32 s52, s55, s0
	s_mul_i32 s50, s47, s51
	s_add_co_ci_u32 s51, s45, 0
	s_delay_alu instid0(SALU_CYCLE_1) | instskip(NEXT) | instid1(SALU_CYCLE_1)
	s_add_nc_u64 s[50:51], s[52:53], s[50:51]
	s_add_co_u32 s46, s46, s50
	s_cselect_b32 s0, -1, 0
	s_delay_alu instid0(SALU_CYCLE_1) | instskip(SKIP_1) | instid1(SALU_CYCLE_1)
	s_cmp_lg_u32 s0, 0
	s_add_co_ci_u32 s47, s47, s51
	s_mul_u64 s[48:49], s[48:49], s[46:47]
	s_delay_alu instid0(SALU_CYCLE_1)
	s_mul_hi_u32 s51, s46, s49
	s_mul_i32 s50, s46, s49
	s_mul_hi_u32 s52, s46, s48
	s_mul_i32 s15, s47, s48
	s_add_nc_u64 s[50:51], s[52:53], s[50:51]
	s_mul_hi_u32 s0, s47, s48
	s_mul_hi_u32 s45, s47, s49
	s_add_co_u32 s15, s50, s15
	s_add_co_ci_u32 s52, s51, s0
	s_mul_i32 s48, s47, s49
	s_add_co_ci_u32 s49, s45, 0
	s_delay_alu instid0(SALU_CYCLE_1) | instskip(NEXT) | instid1(SALU_CYCLE_1)
	s_add_nc_u64 s[48:49], s[52:53], s[48:49]
	s_add_co_u32 s0, s46, s48
	s_cselect_b32 s15, -1, 0
	v_mul_hi_u32 v24, v16, s0
	s_cmp_lg_u32 s15, 0
	s_add_co_ci_u32 s52, s47, s49
	s_mov_b64 s[46:47], 0xffffffff
	v_mul_u64_e32 v[20:21], s[52:53], v[16:17]
	s_and_b64 s[46:47], s[0:1], s[46:47]
	v_mul_u64_e32 v[22:23], s[52:53], v[18:19]
	v_mul_u64_e32 v[12:13], s[46:47], v[18:19]
	s_delay_alu instid0(VALU_DEP_3) | instskip(NEXT) | instid1(VALU_DEP_1)
	v_add_nc_u64_e32 v[20:21], v[24:25], v[20:21]
	v_add_co_u32 v1, vcc_lo, v20, v12
	s_delay_alu instid0(VALU_DEP_2) | instskip(SKIP_1) | instid1(VALU_DEP_1)
	v_add_co_ci_u32_e32 v10, vcc_lo, v21, v13, vcc_lo
	v_add_co_ci_u32_e32 v23, vcc_lo, 0, v23, vcc_lo
	v_add_nc_u64_e32 v[10:11], v[10:11], v[22:23]
	s_delay_alu instid0(VALU_DEP_1) | instskip(NEXT) | instid1(VALU_DEP_1)
	v_mul_u64_e32 v[12:13], s[42:43], v[10:11]
	v_sub_nc_u32_e32 v1, v18, v13
	s_delay_alu instid0(VALU_DEP_2) | instskip(NEXT) | instid1(VALU_DEP_1)
	v_sub_co_u32 v3, vcc_lo, v16, v12
	v_sub_co_ci_u32_e64 v9, null, v18, v13, vcc_lo
	s_delay_alu instid0(VALU_DEP_3) | instskip(NEXT) | instid1(VALU_DEP_3)
	v_subrev_co_ci_u32_e64 v1, null, s43, v1, vcc_lo
	v_sub_co_u32 v5, s0, v3, s42
	v_add_nc_u64_e32 v[16:17], 1, v[10:11]
	s_delay_alu instid0(VALU_DEP_3) | instskip(NEXT) | instid1(VALU_DEP_3)
	v_subrev_co_ci_u32_e64 v1, null, 0, v1, s0
	v_cmp_le_u32_e32 vcc_lo, s42, v5
	v_cndmask_b32_e64 v5, 0, -1, vcc_lo
	s_delay_alu instid0(VALU_DEP_3)
	v_cmp_le_u32_e32 vcc_lo, s43, v1
	v_cndmask_b32_e64 v12, 0, -1, vcc_lo
	v_cmp_le_u32_e32 vcc_lo, s42, v3
	v_cndmask_b32_e64 v3, 0, -1, vcc_lo
	;; [unrolled: 2-line block ×3, first 2 shown]
	v_cmp_eq_u32_e32 vcc_lo, s43, v1
	v_cndmask_b32_e32 v1, v12, v5, vcc_lo
	v_cmp_eq_u32_e32 vcc_lo, s43, v9
	v_add_nc_u64_e32 v[12:13], 2, v[10:11]
	v_cndmask_b32_e32 v3, v15, v3, vcc_lo
	s_delay_alu instid0(VALU_DEP_4) | instskip(NEXT) | instid1(VALU_DEP_2)
	v_cmp_ne_u32_e32 vcc_lo, 0, v1
	v_cmp_ne_u32_e64 s0, 0, v3
	s_delay_alu instid0(VALU_DEP_4) | instskip(NEXT) | instid1(VALU_DEP_1)
	v_dual_cndmask_b32 v1, v17, v13, vcc_lo :: v_dual_cndmask_b32 v3, v16, v12, vcc_lo
                                        ; implicit-def: $vgpr12_vgpr13
	v_dual_cndmask_b32 v1, v11, v1, s0 :: v_dual_cndmask_b32 v3, v10, v3, s0
	s_delay_alu instid0(VALU_DEP_1) | instskip(NEXT) | instid1(VALU_DEP_2)
	v_dual_mov_b32 v9, v8 :: v_dual_bitop2_b32 v11, v1, v8 bitop3:0x14
	v_xor_b32_e32 v10, v3, v8
	s_delay_alu instid0(VALU_DEP_1)
	v_sub_nc_u64_e32 v[8:9], v[10:11], v[8:9]
.LBB8_41:
	s_and_not1_saveexec_b32 s0, s44
	s_cbranch_execz .LBB8_43
; %bb.42:
	v_cvt_f32_u32_e32 v1, s12
	s_sub_co_i32 s14, 0, s12
	v_mov_b32_e32 v9, 0
	s_delay_alu instid0(VALU_DEP_2) | instskip(SKIP_1) | instid1(TRANS32_DEP_1)
	v_rcp_iflag_f32_e32 v1, v1
	v_nop
	v_mul_f32_e32 v1, 0x4f7ffffe, v1
	s_delay_alu instid0(VALU_DEP_1) | instskip(NEXT) | instid1(VALU_DEP_1)
	v_cvt_u32_f32_e32 v1, v1
	v_mul_lo_u32 v3, s14, v1
	s_delay_alu instid0(VALU_DEP_1) | instskip(NEXT) | instid1(VALU_DEP_1)
	v_mul_hi_u32 v3, v1, v3
	v_add_nc_u32_e32 v1, v1, v3
	s_delay_alu instid0(VALU_DEP_1) | instskip(NEXT) | instid1(VALU_DEP_1)
	v_mul_hi_u32 v1, v12, v1
	v_mul_lo_u32 v3, v1, s12
	s_delay_alu instid0(VALU_DEP_1) | instskip(NEXT) | instid1(VALU_DEP_1)
	v_sub_nc_u32_e32 v3, v12, v3
	v_subrev_nc_u32_e32 v8, s12, v3
	v_cmp_le_u32_e32 vcc_lo, s12, v3
	s_delay_alu instid0(VALU_DEP_2) | instskip(NEXT) | instid1(VALU_DEP_1)
	v_dual_add_nc_u32 v5, 1, v1 :: v_dual_cndmask_b32 v3, v3, v8, vcc_lo
	v_cndmask_b32_e32 v1, v1, v5, vcc_lo
	s_delay_alu instid0(VALU_DEP_2) | instskip(NEXT) | instid1(VALU_DEP_2)
	v_cmp_le_u32_e32 vcc_lo, s12, v3
	v_add_nc_u32_e32 v5, 1, v1
	s_delay_alu instid0(VALU_DEP_1)
	v_cndmask_b32_e32 v8, v1, v5, vcc_lo
.LBB8_43:
	s_or_b32 exec_lo, exec_lo, s0
.LBB8_44:
	s_delay_alu instid0(SALU_CYCLE_1) | instskip(SKIP_2) | instid1(VALU_DEP_1)
	s_or_b32 exec_lo, exec_lo, s1
	v_dual_mov_b32 v10, 0 :: v_dual_bitop2_b32 v11, s13, v7 bitop3:0x54
                                        ; implicit-def: $vgpr12_vgpr13
	s_mov_b32 s0, exec_lo
	v_cmpx_ne_u64_e32 0, v[10:11]
	s_xor_b32 s1, exec_lo, s0
	s_cbranch_execz .LBB8_46
; %bb.45:
	s_ashr_i32 s14, s13, 31
	s_mov_b32 s51, 0
	s_mov_b32 s15, s14
	v_dual_mov_b32 v19, v10 :: v_dual_ashrrev_i32 v12, 31, v7
	s_add_nc_u64 s[42:43], s[12:13], s[14:15]
	v_mov_b32_e32 v21, v10
	s_xor_b64 s[42:43], s[42:43], s[14:15]
	s_delay_alu instid0(VALU_DEP_2)
	v_mov_b32_e32 v13, v12
	s_cvt_f32_u32 s0, s42
	s_cvt_f32_u32 s15, s43
	s_sub_nc_u64 s[46:47], 0, s[42:43]
	v_mov_b32_e32 v27, v10
	v_add_nc_u64_e32 v[16:17], v[6:7], v[12:13]
	s_fmamk_f32 s0, s15, 0x4f800000, s0
	v_mov_b32_e32 v11, v10
	s_delay_alu instid0(SALU_CYCLE_2) | instskip(NEXT) | instid1(VALU_DEP_2)
	v_s_rcp_f32 s0, s0
	v_xor_b32_e32 v18, v16, v12
	s_delay_alu instid0(VALU_DEP_3) | instskip(SKIP_1) | instid1(TRANS32_DEP_1)
	v_xor_b32_e32 v20, v17, v12
	v_xor_b32_e32 v12, s14, v12
	s_mul_f32 s0, s0, 0x5f7ffffc
	s_delay_alu instid0(SALU_CYCLE_3) | instskip(NEXT) | instid1(SALU_CYCLE_3)
	s_mul_f32 s15, s0, 0x2f800000
	s_trunc_f32 s15, s15
	s_delay_alu instid0(SALU_CYCLE_3) | instskip(SKIP_1) | instid1(SALU_CYCLE_2)
	s_fmamk_f32 s0, s15, 0xcf800000, s0
	s_cvt_u32_f32 s45, s15
	s_cvt_u32_f32 s44, s0
	s_delay_alu instid0(SALU_CYCLE_3) | instskip(NEXT) | instid1(SALU_CYCLE_1)
	s_mul_u64 s[48:49], s[46:47], s[44:45]
	s_mul_hi_u32 s53, s44, s49
	s_mul_i32 s52, s44, s49
	s_mul_hi_u32 s50, s44, s48
	s_mul_i32 s15, s45, s48
	s_add_nc_u64 s[52:53], s[50:51], s[52:53]
	s_mul_hi_u32 s0, s45, s48
	s_mul_hi_u32 s54, s45, s49
	s_add_co_u32 s15, s52, s15
	s_add_co_ci_u32 s50, s53, s0
	s_mul_i32 s48, s45, s49
	s_add_co_ci_u32 s49, s54, 0
	s_delay_alu instid0(SALU_CYCLE_1) | instskip(NEXT) | instid1(SALU_CYCLE_1)
	s_add_nc_u64 s[48:49], s[50:51], s[48:49]
	s_add_co_u32 s44, s44, s48
	s_cselect_b32 s0, -1, 0
	s_delay_alu instid0(SALU_CYCLE_1) | instskip(SKIP_1) | instid1(SALU_CYCLE_1)
	s_cmp_lg_u32 s0, 0
	s_add_co_ci_u32 s45, s45, s49
	s_mul_u64 s[46:47], s[46:47], s[44:45]
	s_delay_alu instid0(SALU_CYCLE_1)
	s_mul_hi_u32 s49, s44, s47
	s_mul_i32 s48, s44, s47
	s_mul_hi_u32 s50, s44, s46
	s_mul_i32 s15, s45, s46
	s_add_nc_u64 s[48:49], s[50:51], s[48:49]
	s_mul_hi_u32 s0, s45, s46
	s_mul_hi_u32 s52, s45, s47
	s_add_co_u32 s15, s48, s15
	s_add_co_ci_u32 s50, s49, s0
	s_mul_i32 s46, s45, s47
	s_add_co_ci_u32 s47, s52, 0
	s_delay_alu instid0(SALU_CYCLE_1) | instskip(NEXT) | instid1(SALU_CYCLE_1)
	s_add_nc_u64 s[46:47], s[50:51], s[46:47]
	s_add_co_u32 s0, s44, s46
	s_cselect_b32 s15, -1, 0
	v_mul_hi_u32 v26, v18, s0
	s_cmp_lg_u32 s15, 0
	s_add_co_ci_u32 s50, s45, s47
	s_mov_b64 s[44:45], 0xffffffff
	v_mul_u64_e32 v[22:23], s[50:51], v[18:19]
	s_and_b64 s[44:45], s[0:1], s[44:45]
	v_mul_u64_e32 v[24:25], s[50:51], v[20:21]
	v_mul_u64_e32 v[16:17], s[44:45], v[20:21]
	s_delay_alu instid0(VALU_DEP_3) | instskip(NEXT) | instid1(VALU_DEP_1)
	v_add_nc_u64_e32 v[22:23], v[26:27], v[22:23]
	v_add_co_u32 v1, vcc_lo, v22, v16
	s_delay_alu instid0(VALU_DEP_2) | instskip(SKIP_1) | instid1(VALU_DEP_1)
	v_add_co_ci_u32_e32 v10, vcc_lo, v23, v17, vcc_lo
	v_add_co_ci_u32_e32 v25, vcc_lo, 0, v25, vcc_lo
	v_add_nc_u64_e32 v[10:11], v[10:11], v[24:25]
	s_delay_alu instid0(VALU_DEP_1) | instskip(NEXT) | instid1(VALU_DEP_1)
	v_mul_u64_e32 v[16:17], s[42:43], v[10:11]
	v_sub_nc_u32_e32 v1, v20, v17
	s_delay_alu instid0(VALU_DEP_2) | instskip(NEXT) | instid1(VALU_DEP_1)
	v_sub_co_u32 v3, vcc_lo, v18, v16
	v_sub_co_ci_u32_e64 v13, null, v20, v17, vcc_lo
	s_delay_alu instid0(VALU_DEP_3) | instskip(NEXT) | instid1(VALU_DEP_3)
	v_subrev_co_ci_u32_e64 v1, null, s43, v1, vcc_lo
	v_sub_co_u32 v5, s0, v3, s42
	v_add_nc_u64_e32 v[16:17], 2, v[10:11]
	s_delay_alu instid0(VALU_DEP_3) | instskip(NEXT) | instid1(VALU_DEP_3)
	v_subrev_co_ci_u32_e64 v1, null, 0, v1, s0
	v_cmp_le_u32_e32 vcc_lo, s42, v5
	v_add_nc_u64_e32 v[18:19], 1, v[10:11]
	v_cndmask_b32_e64 v5, 0, -1, vcc_lo
	s_delay_alu instid0(VALU_DEP_4)
	v_cmp_le_u32_e32 vcc_lo, s43, v1
	v_cndmask_b32_e64 v15, 0, -1, vcc_lo
	v_cmp_le_u32_e32 vcc_lo, s42, v3
	v_cndmask_b32_e64 v3, 0, -1, vcc_lo
	;; [unrolled: 2-line block ×3, first 2 shown]
	v_cmp_eq_u32_e32 vcc_lo, s43, v1
	v_cndmask_b32_e32 v1, v15, v5, vcc_lo
	v_cmp_eq_u32_e32 vcc_lo, s43, v13
	s_delay_alu instid0(VALU_DEP_4) | instskip(NEXT) | instid1(VALU_DEP_3)
	v_cndmask_b32_e32 v3, v20, v3, vcc_lo
	v_cmp_ne_u32_e32 vcc_lo, 0, v1
	s_delay_alu instid0(VALU_DEP_2) | instskip(SKIP_1) | instid1(VALU_DEP_1)
	v_cmp_ne_u32_e64 s0, 0, v3
	v_dual_cndmask_b32 v1, v19, v17, vcc_lo :: v_dual_cndmask_b32 v3, v18, v16, vcc_lo
	v_dual_cndmask_b32 v1, v11, v1, s0 :: v_dual_cndmask_b32 v3, v10, v3, s0
	s_delay_alu instid0(VALU_DEP_1) | instskip(NEXT) | instid1(VALU_DEP_2)
	v_dual_mov_b32 v13, v12 :: v_dual_bitop2_b32 v11, v1, v12 bitop3:0x14
	v_xor_b32_e32 v10, v3, v12
	s_delay_alu instid0(VALU_DEP_1)
	v_sub_nc_u64_e32 v[12:13], v[10:11], v[12:13]
.LBB8_46:
	s_and_not1_saveexec_b32 s0, s1
	s_cbranch_execz .LBB8_48
; %bb.47:
	v_cvt_f32_u32_e32 v1, s12
	s_sub_co_i32 s1, 0, s12
	v_mov_b32_e32 v13, 0
	s_delay_alu instid0(VALU_DEP_2) | instskip(SKIP_1) | instid1(TRANS32_DEP_1)
	v_rcp_iflag_f32_e32 v1, v1
	v_nop
	v_mul_f32_e32 v1, 0x4f7ffffe, v1
	s_delay_alu instid0(VALU_DEP_1) | instskip(NEXT) | instid1(VALU_DEP_1)
	v_cvt_u32_f32_e32 v1, v1
	v_mul_lo_u32 v3, s1, v1
	s_delay_alu instid0(VALU_DEP_1) | instskip(NEXT) | instid1(VALU_DEP_1)
	v_mul_hi_u32 v3, v1, v3
	v_add_nc_u32_e32 v1, v1, v3
	s_delay_alu instid0(VALU_DEP_1) | instskip(NEXT) | instid1(VALU_DEP_1)
	v_mul_hi_u32 v1, v6, v1
	v_mul_lo_u32 v3, v1, s12
	s_delay_alu instid0(VALU_DEP_1) | instskip(NEXT) | instid1(VALU_DEP_1)
	v_sub_nc_u32_e32 v3, v6, v3
	v_subrev_nc_u32_e32 v10, s12, v3
	v_cmp_le_u32_e32 vcc_lo, s12, v3
	s_delay_alu instid0(VALU_DEP_2) | instskip(NEXT) | instid1(VALU_DEP_1)
	v_dual_add_nc_u32 v5, 1, v1 :: v_dual_cndmask_b32 v3, v3, v10, vcc_lo
	v_cndmask_b32_e32 v1, v1, v5, vcc_lo
	s_delay_alu instid0(VALU_DEP_2) | instskip(NEXT) | instid1(VALU_DEP_2)
	v_cmp_le_u32_e32 vcc_lo, s12, v3
	v_add_nc_u32_e32 v5, 1, v1
	s_delay_alu instid0(VALU_DEP_1)
	v_cndmask_b32_e32 v12, v1, v5, vcc_lo
.LBB8_48:
	s_or_b32 exec_lo, exec_lo, s0
	v_mul_u64_e32 v[16:17], s[12:13], v[8:9]
	s_delay_alu instid0(VALU_DEP_2) | instskip(SKIP_2) | instid1(VALU_DEP_2)
	v_min_i64 v[10:11], v[12:13], s[2:3]
	s_mov_b32 s14, 0
	s_mov_b32 s15, exec_lo
	v_add_nc_u64_e32 v[12:13], s[10:11], v[16:17]
	v_cmp_gt_i64_e32 vcc_lo, v[16:17], v[6:7]
	s_delay_alu instid0(VALU_DEP_2) | instskip(SKIP_2) | instid1(SALU_CYCLE_1)
	v_cmp_ge_i64_e64 s0, v[6:7], v[12:13]
	v_mov_b32_e32 v13, s14
	s_or_b32 s0, vcc_lo, s0
	v_cndmask_b32_e64 v12, 0, 1, s0
	s_delay_alu instid0(VALU_DEP_1) | instskip(NEXT) | instid1(VALU_DEP_1)
	v_add_nc_u64_e32 v[12:13], v[8:9], v[12:13]
	v_cmpx_le_i64_e64 v[12:13], v[10:11]
	s_cbranch_execz .LBB8_51
; %bb.49:
	global_load_b64 v[8:9], v2, s[4:5]
	v_mul_u64_e32 v[16:17], s[12:13], v[12:13]
	v_mov_b32_e32 v3, 0
	s_mul_u64 s[0:1], s[12:13], s[18:19]
	s_lshl_b64 s[42:43], s[16:17], 3
	s_lshl_b64 s[0:1], s[0:1], 3
	s_delay_alu instid0(VALU_DEP_1) | instskip(SKIP_3) | instid1(VALU_DEP_4)
	v_mov_b32_e32 v5, v3
	s_wait_xcnt 0x0
	v_add_nc_u64_e32 v[2:3], s[4:5], v[2:3]
	s_sub_nc_u64 s[0:1], s[42:43], s[0:1]
	v_sub_nc_u64_e32 v[6:7], v[6:7], v[16:17]
	v_mul_u64_e32 v[16:17], s[16:17], v[12:13]
	s_delay_alu instid0(VALU_DEP_2) | instskip(NEXT) | instid1(VALU_DEP_2)
	v_mul_u64_e32 v[6:7], s[18:19], v[6:7]
	v_lshlrev_b64_e32 v[16:17], 3, v[16:17]
	s_delay_alu instid0(VALU_DEP_1) | instskip(NEXT) | instid1(VALU_DEP_1)
	v_lshl_add_u64 v[6:7], v[6:7], 3, v[16:17]
	v_add_nc_u64_e32 v[6:7], v[6:7], v[4:5]
	v_add_nc_u64_e32 v[4:5], -1, v[12:13]
	s_delay_alu instid0(VALU_DEP_2)
	v_add_nc_u64_e32 v[6:7], s[6:7], v[6:7]
.LBB8_50:                               ; =>This Inner Loop Header: Depth=1
	global_load_b64 v[12:13], v[6:7], off
	v_add_nc_u64_e32 v[4:5], 1, v[4:5]
	s_wait_xcnt 0x0
	v_add_nc_u64_e32 v[6:7], s[0:1], v[6:7]
	s_delay_alu instid0(VALU_DEP_2)
	v_cmp_ge_i64_e32 vcc_lo, v[4:5], v[10:11]
	s_or_b32 s14, vcc_lo, s14
	s_wait_loadcnt 0x0
	v_pk_add_f32 v[8:9], v[8:9], v[12:13]
	global_store_b64 v[2:3], v[8:9], off
	s_wait_xcnt 0x0
	s_and_not1_b32 exec_lo, exec_lo, s14
	s_cbranch_execnz .LBB8_50
.LBB8_51:
	s_or_b32 exec_lo, exec_lo, s15
	v_add_nc_u32_e32 v0, 0x100, v0
	s_or_b32 exec_lo, exec_lo, s29
	s_delay_alu instid0(SALU_CYCLE_1) | instskip(NEXT) | instid1(VALU_DEP_1)
	s_mov_b32 s29, exec_lo
	v_cmpx_gt_i32_e64 s31, v0
	s_cbranch_execz .LBB8_3
.LBB8_52:
	v_cmp_ne_u32_e32 vcc_lo, 1, v14
	s_cbranch_vccnz .LBB8_59
; %bb.53:
	v_dual_mov_b32 v3, 0 :: v_dual_mov_b32 v4, 0
	v_mov_b32_e32 v2, 0
	s_and_not1_b32 vcc_lo, exec_lo, s33
	s_cbranch_vccnz .LBB8_58
; %bb.54:
	v_dual_mov_b32 v2, 0 :: v_dual_mov_b32 v1, v0
	v_dual_mov_b32 v4, 0 :: v_dual_mov_b32 v3, 0
	s_add_co_i32 s14, s22, 1
	s_mov_b64 s[0:1], 0xffffffffffffffe8
	s_and_b32 s14, s14, 30
	s_add_nc_u64 s[0:1], s[40:41], s[0:1]
.LBB8_55:                               ; =>This Inner Loop Header: Depth=1
	s_clause 0x1
	s_load_b128 s[44:47], s[0:1], 0x1c
	s_load_b64 s[42:43], s[0:1], 0x2c
	s_add_co_i32 s14, s14, -2
	s_delay_alu instid0(SALU_CYCLE_1) | instskip(SKIP_2) | instid1(VALU_DEP_1)
	s_cmp_eq_u32 s14, 0
	s_wait_kmcnt 0x0
	v_mul_hi_u32 v5, s45, v1
	v_add_nc_u32_e32 v5, v1, v5
	s_delay_alu instid0(VALU_DEP_1) | instskip(NEXT) | instid1(VALU_DEP_1)
	v_lshrrev_b32_e32 v5, s46, v5
	v_mul_hi_u32 v6, s42, v5
	v_mul_lo_u32 v7, v5, s44
	s_clause 0x1
	s_load_b128 s[48:51], s[0:1], 0xdc
	s_load_b64 s[44:45], s[0:1], 0xec
	s_wait_xcnt 0x0
	s_add_nc_u64 s[0:1], s[0:1], 24
	s_delay_alu instid0(VALU_DEP_2) | instskip(NEXT) | instid1(VALU_DEP_1)
	v_add_nc_u32_e32 v6, v5, v6
	v_dual_sub_nc_u32 v7, v1, v7 :: v_dual_lshrrev_b32 v1, s43, v6
	s_wait_kmcnt 0x0
	s_delay_alu instid0(VALU_DEP_1) | instskip(NEXT) | instid1(VALU_DEP_2)
	v_mad_u32 v2, v7, s48, v2
	v_mul_lo_u32 v6, v1, s47
	v_mad_u32 v3, v7, s50, v3
	v_mad_u32 v4, v7, s49, v4
	s_delay_alu instid0(VALU_DEP_3) | instskip(NEXT) | instid1(VALU_DEP_1)
	v_sub_nc_u32_e32 v5, v5, v6
	v_mad_u32 v2, v5, s51, v2
	s_delay_alu instid0(VALU_DEP_4) | instskip(NEXT) | instid1(VALU_DEP_4)
	v_mad_u32 v3, v5, s45, v3
	v_mad_u32 v4, v5, s44, v4
	s_cbranch_scc0 .LBB8_55
; %bb.56:
	s_bitcmp1_b32 s22, 0
	s_cselect_b32 s14, -1, 0
	s_delay_alu instid0(SALU_CYCLE_1)
	s_and_b32 vcc_lo, exec_lo, s14
	s_cbranch_vccnz .LBB8_58
; %bb.57:
	s_clause 0x1
	s_load_b96 s[44:46], s[0:1], 0x1c
	s_load_b96 s[48:50], s[0:1], 0xdc
	s_wait_kmcnt 0x0
	v_mul_hi_u32 v5, s45, v1
	s_delay_alu instid0(VALU_DEP_1) | instskip(NEXT) | instid1(VALU_DEP_1)
	v_add_nc_u32_e32 v5, v1, v5
	v_lshrrev_b32_e32 v5, s46, v5
	s_delay_alu instid0(VALU_DEP_1) | instskip(NEXT) | instid1(VALU_DEP_1)
	v_mul_lo_u32 v5, v5, s44
	v_sub_nc_u32_e32 v1, v1, v5
	s_delay_alu instid0(VALU_DEP_1)
	v_mad_u32 v2, v1, s48, v2
	v_mad_u32 v4, v1, s49, v4
	v_mad_u32 v3, v1, s50, v3
.LBB8_58:
	s_cbranch_execz .LBB8_60
	s_branch .LBB8_62
.LBB8_59:
                                        ; implicit-def: $vgpr3
                                        ; implicit-def: $vgpr4
                                        ; implicit-def: $vgpr2
.LBB8_60:
	v_mov_b32_e32 v1, 0
	s_and_not1_b32 vcc_lo, exec_lo, s20
	s_delay_alu instid0(VALU_DEP_1) | instskip(NEXT) | instid1(VALU_DEP_1)
	v_mul_u64_e32 v[2:3], s[36:37], v[0:1]
	v_add_nc_u32_e32 v2, v0, v3
	s_delay_alu instid0(VALU_DEP_1) | instskip(NEXT) | instid1(VALU_DEP_1)
	v_lshrrev_b32_e32 v6, s23, v2
	v_mul_lo_u32 v2, v6, s21
	s_delay_alu instid0(VALU_DEP_1) | instskip(NEXT) | instid1(VALU_DEP_1)
	v_sub_nc_u32_e32 v4, v0, v2
	v_mul_lo_u32 v2, v4, s24
	v_mul_lo_u32 v3, v4, s26
	;; [unrolled: 1-line block ×3, first 2 shown]
	s_cbranch_vccnz .LBB8_62
; %bb.61:
	v_mov_b32_e32 v7, v1
	s_delay_alu instid0(VALU_DEP_1) | instskip(NEXT) | instid1(VALU_DEP_1)
	v_mul_u64_e32 v[8:9], s[38:39], v[6:7]
	v_add_nc_u32_e32 v1, v6, v9
	s_delay_alu instid0(VALU_DEP_1) | instskip(NEXT) | instid1(VALU_DEP_1)
	v_lshrrev_b32_e32 v1, s30, v1
	v_mul_lo_u32 v1, v1, s28
	s_delay_alu instid0(VALU_DEP_1) | instskip(NEXT) | instid1(VALU_DEP_1)
	v_sub_nc_u32_e32 v1, v6, v1
	v_mad_u32 v2, v1, s27, v2
	v_mad_u32 v4, v1, s34, v4
	;; [unrolled: 1-line block ×3, first 2 shown]
.LBB8_62:
	global_load_b64 v[6:7], v3, s[8:9]
	v_mov_b64_e32 v[8:9], 0
	s_mov_b32 s1, exec_lo
	s_wait_loadcnt 0x0
	v_cmpx_lt_i64_e64 s[10:11], v[6:7]
	s_cbranch_execz .LBB8_68
; %bb.63:
	v_sub_nc_u64_e64 v[12:13], v[6:7], s[10:11]
                                        ; implicit-def: $vgpr8_vgpr9
	s_mov_b32 s0, exec_lo
	s_delay_alu instid0(VALU_DEP_1) | instskip(NEXT) | instid1(VALU_DEP_1)
	v_dual_mov_b32 v10, 0 :: v_dual_bitop2_b32 v11, s13, v13 bitop3:0x54
	v_cmpx_ne_u64_e32 0, v[10:11]
	s_xor_b32 s44, exec_lo, s0
	s_cbranch_execz .LBB8_65
; %bb.64:
	s_ashr_i32 s14, s13, 31
	s_mov_b32 s53, 0
	s_mov_b32 s15, s14
	v_dual_mov_b32 v17, v10 :: v_dual_ashrrev_i32 v8, 31, v13
	s_add_nc_u64 s[42:43], s[12:13], s[14:15]
	v_mov_b32_e32 v19, v10
	s_xor_b64 s[42:43], s[42:43], s[14:15]
	s_delay_alu instid0(VALU_DEP_2)
	v_mov_b32_e32 v9, v8
	s_cvt_f32_u32 s0, s42
	s_cvt_f32_u32 s15, s43
	s_sub_nc_u64 s[48:49], 0, s[42:43]
	v_mov_b32_e32 v25, v10
	v_add_nc_u64_e32 v[12:13], v[12:13], v[8:9]
	s_fmamk_f32 s0, s15, 0x4f800000, s0
	v_mov_b32_e32 v11, v10
	s_delay_alu instid0(SALU_CYCLE_2) | instskip(NEXT) | instid1(VALU_DEP_2)
	v_s_rcp_f32 s0, s0
	v_xor_b32_e32 v16, v12, v8
	s_delay_alu instid0(VALU_DEP_3) | instskip(SKIP_1) | instid1(TRANS32_DEP_1)
	v_xor_b32_e32 v18, v13, v8
	v_xor_b32_e32 v8, s14, v8
	s_mul_f32 s0, s0, 0x5f7ffffc
	s_delay_alu instid0(SALU_CYCLE_3) | instskip(NEXT) | instid1(SALU_CYCLE_3)
	s_mul_f32 s15, s0, 0x2f800000
	s_trunc_f32 s15, s15
	s_delay_alu instid0(SALU_CYCLE_3) | instskip(SKIP_1) | instid1(SALU_CYCLE_2)
	s_fmamk_f32 s0, s15, 0xcf800000, s0
	s_cvt_u32_f32 s47, s15
	s_cvt_u32_f32 s46, s0
	s_delay_alu instid0(SALU_CYCLE_3) | instskip(NEXT) | instid1(SALU_CYCLE_1)
	s_mul_u64 s[50:51], s[48:49], s[46:47]
	s_mul_hi_u32 s55, s46, s51
	s_mul_i32 s54, s46, s51
	s_mul_hi_u32 s52, s46, s50
	s_mul_i32 s15, s47, s50
	s_add_nc_u64 s[54:55], s[52:53], s[54:55]
	s_mul_hi_u32 s0, s47, s50
	s_mul_hi_u32 s45, s47, s51
	s_add_co_u32 s15, s54, s15
	s_add_co_ci_u32 s52, s55, s0
	s_mul_i32 s50, s47, s51
	s_add_co_ci_u32 s51, s45, 0
	s_delay_alu instid0(SALU_CYCLE_1) | instskip(NEXT) | instid1(SALU_CYCLE_1)
	s_add_nc_u64 s[50:51], s[52:53], s[50:51]
	s_add_co_u32 s46, s46, s50
	s_cselect_b32 s0, -1, 0
	s_delay_alu instid0(SALU_CYCLE_1) | instskip(SKIP_1) | instid1(SALU_CYCLE_1)
	s_cmp_lg_u32 s0, 0
	s_add_co_ci_u32 s47, s47, s51
	s_mul_u64 s[48:49], s[48:49], s[46:47]
	s_delay_alu instid0(SALU_CYCLE_1)
	s_mul_hi_u32 s51, s46, s49
	s_mul_i32 s50, s46, s49
	s_mul_hi_u32 s52, s46, s48
	s_mul_i32 s15, s47, s48
	s_add_nc_u64 s[50:51], s[52:53], s[50:51]
	s_mul_hi_u32 s0, s47, s48
	s_mul_hi_u32 s45, s47, s49
	s_add_co_u32 s15, s50, s15
	s_add_co_ci_u32 s52, s51, s0
	s_mul_i32 s48, s47, s49
	s_add_co_ci_u32 s49, s45, 0
	s_delay_alu instid0(SALU_CYCLE_1) | instskip(NEXT) | instid1(SALU_CYCLE_1)
	s_add_nc_u64 s[48:49], s[52:53], s[48:49]
	s_add_co_u32 s0, s46, s48
	s_cselect_b32 s15, -1, 0
	v_mul_hi_u32 v24, v16, s0
	s_cmp_lg_u32 s15, 0
	s_add_co_ci_u32 s52, s47, s49
	s_mov_b64 s[46:47], 0xffffffff
	v_mul_u64_e32 v[20:21], s[52:53], v[16:17]
	s_and_b64 s[46:47], s[0:1], s[46:47]
	v_mul_u64_e32 v[22:23], s[52:53], v[18:19]
	v_mul_u64_e32 v[12:13], s[46:47], v[18:19]
	s_delay_alu instid0(VALU_DEP_3) | instskip(NEXT) | instid1(VALU_DEP_1)
	v_add_nc_u64_e32 v[20:21], v[24:25], v[20:21]
	v_add_co_u32 v1, vcc_lo, v20, v12
	s_delay_alu instid0(VALU_DEP_2) | instskip(SKIP_1) | instid1(VALU_DEP_1)
	v_add_co_ci_u32_e32 v10, vcc_lo, v21, v13, vcc_lo
	v_add_co_ci_u32_e32 v23, vcc_lo, 0, v23, vcc_lo
	v_add_nc_u64_e32 v[10:11], v[10:11], v[22:23]
	s_delay_alu instid0(VALU_DEP_1) | instskip(NEXT) | instid1(VALU_DEP_1)
	v_mul_u64_e32 v[12:13], s[42:43], v[10:11]
	v_sub_nc_u32_e32 v1, v18, v13
	s_delay_alu instid0(VALU_DEP_2) | instskip(NEXT) | instid1(VALU_DEP_1)
	v_sub_co_u32 v3, vcc_lo, v16, v12
	v_sub_co_ci_u32_e64 v9, null, v18, v13, vcc_lo
	s_delay_alu instid0(VALU_DEP_3) | instskip(NEXT) | instid1(VALU_DEP_3)
	v_subrev_co_ci_u32_e64 v1, null, s43, v1, vcc_lo
	v_sub_co_u32 v5, s0, v3, s42
	v_add_nc_u64_e32 v[16:17], 1, v[10:11]
	s_delay_alu instid0(VALU_DEP_3) | instskip(NEXT) | instid1(VALU_DEP_3)
	v_subrev_co_ci_u32_e64 v1, null, 0, v1, s0
	v_cmp_le_u32_e32 vcc_lo, s42, v5
	v_cndmask_b32_e64 v5, 0, -1, vcc_lo
	s_delay_alu instid0(VALU_DEP_3)
	v_cmp_le_u32_e32 vcc_lo, s43, v1
	v_cndmask_b32_e64 v12, 0, -1, vcc_lo
	v_cmp_le_u32_e32 vcc_lo, s42, v3
	v_cndmask_b32_e64 v3, 0, -1, vcc_lo
	;; [unrolled: 2-line block ×3, first 2 shown]
	v_cmp_eq_u32_e32 vcc_lo, s43, v1
	v_cndmask_b32_e32 v1, v12, v5, vcc_lo
	v_cmp_eq_u32_e32 vcc_lo, s43, v9
	v_add_nc_u64_e32 v[12:13], 2, v[10:11]
	v_cndmask_b32_e32 v3, v15, v3, vcc_lo
	s_delay_alu instid0(VALU_DEP_4) | instskip(NEXT) | instid1(VALU_DEP_2)
	v_cmp_ne_u32_e32 vcc_lo, 0, v1
	v_cmp_ne_u32_e64 s0, 0, v3
	s_delay_alu instid0(VALU_DEP_4) | instskip(NEXT) | instid1(VALU_DEP_1)
	v_dual_cndmask_b32 v1, v17, v13, vcc_lo :: v_dual_cndmask_b32 v3, v16, v12, vcc_lo
                                        ; implicit-def: $vgpr12_vgpr13
	v_dual_cndmask_b32 v1, v11, v1, s0 :: v_dual_cndmask_b32 v3, v10, v3, s0
	s_delay_alu instid0(VALU_DEP_1) | instskip(NEXT) | instid1(VALU_DEP_2)
	v_dual_mov_b32 v9, v8 :: v_dual_bitop2_b32 v11, v1, v8 bitop3:0x14
	v_xor_b32_e32 v10, v3, v8
	s_delay_alu instid0(VALU_DEP_1)
	v_sub_nc_u64_e32 v[8:9], v[10:11], v[8:9]
.LBB8_65:
	s_and_not1_saveexec_b32 s0, s44
	s_cbranch_execz .LBB8_67
; %bb.66:
	v_cvt_f32_u32_e32 v1, s12
	s_sub_co_i32 s14, 0, s12
	v_mov_b32_e32 v9, 0
	s_delay_alu instid0(VALU_DEP_2) | instskip(SKIP_1) | instid1(TRANS32_DEP_1)
	v_rcp_iflag_f32_e32 v1, v1
	v_nop
	v_mul_f32_e32 v1, 0x4f7ffffe, v1
	s_delay_alu instid0(VALU_DEP_1) | instskip(NEXT) | instid1(VALU_DEP_1)
	v_cvt_u32_f32_e32 v1, v1
	v_mul_lo_u32 v3, s14, v1
	s_delay_alu instid0(VALU_DEP_1) | instskip(NEXT) | instid1(VALU_DEP_1)
	v_mul_hi_u32 v3, v1, v3
	v_add_nc_u32_e32 v1, v1, v3
	s_delay_alu instid0(VALU_DEP_1) | instskip(NEXT) | instid1(VALU_DEP_1)
	v_mul_hi_u32 v1, v12, v1
	v_mul_lo_u32 v3, v1, s12
	s_delay_alu instid0(VALU_DEP_1) | instskip(NEXT) | instid1(VALU_DEP_1)
	v_sub_nc_u32_e32 v3, v12, v3
	v_subrev_nc_u32_e32 v8, s12, v3
	v_cmp_le_u32_e32 vcc_lo, s12, v3
	s_delay_alu instid0(VALU_DEP_2) | instskip(NEXT) | instid1(VALU_DEP_1)
	v_dual_add_nc_u32 v5, 1, v1 :: v_dual_cndmask_b32 v3, v3, v8, vcc_lo
	v_cndmask_b32_e32 v1, v1, v5, vcc_lo
	s_delay_alu instid0(VALU_DEP_2) | instskip(NEXT) | instid1(VALU_DEP_2)
	v_cmp_le_u32_e32 vcc_lo, s12, v3
	v_add_nc_u32_e32 v5, 1, v1
	s_delay_alu instid0(VALU_DEP_1)
	v_cndmask_b32_e32 v8, v1, v5, vcc_lo
.LBB8_67:
	s_or_b32 exec_lo, exec_lo, s0
.LBB8_68:
	s_delay_alu instid0(SALU_CYCLE_1) | instskip(SKIP_2) | instid1(VALU_DEP_1)
	s_or_b32 exec_lo, exec_lo, s1
	v_dual_mov_b32 v10, 0 :: v_dual_bitop2_b32 v11, s13, v7 bitop3:0x54
                                        ; implicit-def: $vgpr12_vgpr13
	s_mov_b32 s0, exec_lo
	v_cmpx_ne_u64_e32 0, v[10:11]
	s_xor_b32 s1, exec_lo, s0
	s_cbranch_execz .LBB8_70
; %bb.69:
	s_ashr_i32 s14, s13, 31
	s_mov_b32 s51, 0
	s_mov_b32 s15, s14
	v_dual_mov_b32 v19, v10 :: v_dual_ashrrev_i32 v12, 31, v7
	s_add_nc_u64 s[42:43], s[12:13], s[14:15]
	v_mov_b32_e32 v21, v10
	s_xor_b64 s[42:43], s[42:43], s[14:15]
	s_delay_alu instid0(VALU_DEP_2)
	v_mov_b32_e32 v13, v12
	s_cvt_f32_u32 s0, s42
	s_cvt_f32_u32 s15, s43
	s_sub_nc_u64 s[46:47], 0, s[42:43]
	v_mov_b32_e32 v27, v10
	v_add_nc_u64_e32 v[16:17], v[6:7], v[12:13]
	s_fmamk_f32 s0, s15, 0x4f800000, s0
	v_mov_b32_e32 v11, v10
	s_delay_alu instid0(SALU_CYCLE_2) | instskip(NEXT) | instid1(VALU_DEP_2)
	v_s_rcp_f32 s0, s0
	v_xor_b32_e32 v18, v16, v12
	s_delay_alu instid0(VALU_DEP_3) | instskip(SKIP_1) | instid1(TRANS32_DEP_1)
	v_xor_b32_e32 v20, v17, v12
	v_xor_b32_e32 v12, s14, v12
	s_mul_f32 s0, s0, 0x5f7ffffc
	s_delay_alu instid0(SALU_CYCLE_3) | instskip(NEXT) | instid1(SALU_CYCLE_3)
	s_mul_f32 s15, s0, 0x2f800000
	s_trunc_f32 s15, s15
	s_delay_alu instid0(SALU_CYCLE_3) | instskip(SKIP_1) | instid1(SALU_CYCLE_2)
	s_fmamk_f32 s0, s15, 0xcf800000, s0
	s_cvt_u32_f32 s45, s15
	s_cvt_u32_f32 s44, s0
	s_delay_alu instid0(SALU_CYCLE_3) | instskip(NEXT) | instid1(SALU_CYCLE_1)
	s_mul_u64 s[48:49], s[46:47], s[44:45]
	s_mul_hi_u32 s53, s44, s49
	s_mul_i32 s52, s44, s49
	s_mul_hi_u32 s50, s44, s48
	s_mul_i32 s15, s45, s48
	s_add_nc_u64 s[52:53], s[50:51], s[52:53]
	s_mul_hi_u32 s0, s45, s48
	s_mul_hi_u32 s54, s45, s49
	s_add_co_u32 s15, s52, s15
	s_add_co_ci_u32 s50, s53, s0
	s_mul_i32 s48, s45, s49
	s_add_co_ci_u32 s49, s54, 0
	s_delay_alu instid0(SALU_CYCLE_1) | instskip(NEXT) | instid1(SALU_CYCLE_1)
	s_add_nc_u64 s[48:49], s[50:51], s[48:49]
	s_add_co_u32 s44, s44, s48
	s_cselect_b32 s0, -1, 0
	s_delay_alu instid0(SALU_CYCLE_1) | instskip(SKIP_1) | instid1(SALU_CYCLE_1)
	s_cmp_lg_u32 s0, 0
	s_add_co_ci_u32 s45, s45, s49
	s_mul_u64 s[46:47], s[46:47], s[44:45]
	s_delay_alu instid0(SALU_CYCLE_1)
	s_mul_hi_u32 s49, s44, s47
	s_mul_i32 s48, s44, s47
	s_mul_hi_u32 s50, s44, s46
	s_mul_i32 s15, s45, s46
	s_add_nc_u64 s[48:49], s[50:51], s[48:49]
	s_mul_hi_u32 s0, s45, s46
	s_mul_hi_u32 s52, s45, s47
	s_add_co_u32 s15, s48, s15
	s_add_co_ci_u32 s50, s49, s0
	s_mul_i32 s46, s45, s47
	s_add_co_ci_u32 s47, s52, 0
	s_delay_alu instid0(SALU_CYCLE_1) | instskip(NEXT) | instid1(SALU_CYCLE_1)
	s_add_nc_u64 s[46:47], s[50:51], s[46:47]
	s_add_co_u32 s0, s44, s46
	s_cselect_b32 s15, -1, 0
	v_mul_hi_u32 v26, v18, s0
	s_cmp_lg_u32 s15, 0
	s_add_co_ci_u32 s50, s45, s47
	s_mov_b64 s[44:45], 0xffffffff
	v_mul_u64_e32 v[22:23], s[50:51], v[18:19]
	s_and_b64 s[44:45], s[0:1], s[44:45]
	v_mul_u64_e32 v[24:25], s[50:51], v[20:21]
	v_mul_u64_e32 v[16:17], s[44:45], v[20:21]
	s_delay_alu instid0(VALU_DEP_3) | instskip(NEXT) | instid1(VALU_DEP_1)
	v_add_nc_u64_e32 v[22:23], v[26:27], v[22:23]
	v_add_co_u32 v1, vcc_lo, v22, v16
	s_delay_alu instid0(VALU_DEP_2) | instskip(SKIP_1) | instid1(VALU_DEP_1)
	v_add_co_ci_u32_e32 v10, vcc_lo, v23, v17, vcc_lo
	v_add_co_ci_u32_e32 v25, vcc_lo, 0, v25, vcc_lo
	v_add_nc_u64_e32 v[10:11], v[10:11], v[24:25]
	s_delay_alu instid0(VALU_DEP_1) | instskip(NEXT) | instid1(VALU_DEP_1)
	v_mul_u64_e32 v[16:17], s[42:43], v[10:11]
	v_sub_nc_u32_e32 v1, v20, v17
	s_delay_alu instid0(VALU_DEP_2) | instskip(NEXT) | instid1(VALU_DEP_1)
	v_sub_co_u32 v3, vcc_lo, v18, v16
	v_sub_co_ci_u32_e64 v13, null, v20, v17, vcc_lo
	s_delay_alu instid0(VALU_DEP_3) | instskip(NEXT) | instid1(VALU_DEP_3)
	v_subrev_co_ci_u32_e64 v1, null, s43, v1, vcc_lo
	v_sub_co_u32 v5, s0, v3, s42
	v_add_nc_u64_e32 v[16:17], 2, v[10:11]
	s_delay_alu instid0(VALU_DEP_3) | instskip(NEXT) | instid1(VALU_DEP_3)
	v_subrev_co_ci_u32_e64 v1, null, 0, v1, s0
	v_cmp_le_u32_e32 vcc_lo, s42, v5
	v_add_nc_u64_e32 v[18:19], 1, v[10:11]
	v_cndmask_b32_e64 v5, 0, -1, vcc_lo
	s_delay_alu instid0(VALU_DEP_4)
	v_cmp_le_u32_e32 vcc_lo, s43, v1
	v_cndmask_b32_e64 v15, 0, -1, vcc_lo
	v_cmp_le_u32_e32 vcc_lo, s42, v3
	v_cndmask_b32_e64 v3, 0, -1, vcc_lo
	;; [unrolled: 2-line block ×3, first 2 shown]
	v_cmp_eq_u32_e32 vcc_lo, s43, v1
	v_cndmask_b32_e32 v1, v15, v5, vcc_lo
	v_cmp_eq_u32_e32 vcc_lo, s43, v13
	s_delay_alu instid0(VALU_DEP_4) | instskip(NEXT) | instid1(VALU_DEP_3)
	v_cndmask_b32_e32 v3, v20, v3, vcc_lo
	v_cmp_ne_u32_e32 vcc_lo, 0, v1
	s_delay_alu instid0(VALU_DEP_2) | instskip(SKIP_1) | instid1(VALU_DEP_1)
	v_cmp_ne_u32_e64 s0, 0, v3
	v_dual_cndmask_b32 v1, v19, v17, vcc_lo :: v_dual_cndmask_b32 v3, v18, v16, vcc_lo
	v_dual_cndmask_b32 v1, v11, v1, s0 :: v_dual_cndmask_b32 v3, v10, v3, s0
	s_delay_alu instid0(VALU_DEP_1) | instskip(NEXT) | instid1(VALU_DEP_2)
	v_dual_mov_b32 v13, v12 :: v_dual_bitop2_b32 v11, v1, v12 bitop3:0x14
	v_xor_b32_e32 v10, v3, v12
	s_delay_alu instid0(VALU_DEP_1)
	v_sub_nc_u64_e32 v[12:13], v[10:11], v[12:13]
.LBB8_70:
	s_and_not1_saveexec_b32 s0, s1
	s_cbranch_execz .LBB8_72
; %bb.71:
	v_cvt_f32_u32_e32 v1, s12
	s_sub_co_i32 s1, 0, s12
	v_mov_b32_e32 v13, 0
	s_delay_alu instid0(VALU_DEP_2) | instskip(SKIP_1) | instid1(TRANS32_DEP_1)
	v_rcp_iflag_f32_e32 v1, v1
	v_nop
	v_mul_f32_e32 v1, 0x4f7ffffe, v1
	s_delay_alu instid0(VALU_DEP_1) | instskip(NEXT) | instid1(VALU_DEP_1)
	v_cvt_u32_f32_e32 v1, v1
	v_mul_lo_u32 v3, s1, v1
	s_delay_alu instid0(VALU_DEP_1) | instskip(NEXT) | instid1(VALU_DEP_1)
	v_mul_hi_u32 v3, v1, v3
	v_add_nc_u32_e32 v1, v1, v3
	s_delay_alu instid0(VALU_DEP_1) | instskip(NEXT) | instid1(VALU_DEP_1)
	v_mul_hi_u32 v1, v6, v1
	v_mul_lo_u32 v3, v1, s12
	s_delay_alu instid0(VALU_DEP_1) | instskip(NEXT) | instid1(VALU_DEP_1)
	v_sub_nc_u32_e32 v3, v6, v3
	v_subrev_nc_u32_e32 v10, s12, v3
	v_cmp_le_u32_e32 vcc_lo, s12, v3
	s_delay_alu instid0(VALU_DEP_2) | instskip(NEXT) | instid1(VALU_DEP_1)
	v_dual_add_nc_u32 v5, 1, v1 :: v_dual_cndmask_b32 v3, v3, v10, vcc_lo
	v_cndmask_b32_e32 v1, v1, v5, vcc_lo
	s_delay_alu instid0(VALU_DEP_2) | instskip(NEXT) | instid1(VALU_DEP_2)
	v_cmp_le_u32_e32 vcc_lo, s12, v3
	v_add_nc_u32_e32 v5, 1, v1
	s_delay_alu instid0(VALU_DEP_1)
	v_cndmask_b32_e32 v12, v1, v5, vcc_lo
.LBB8_72:
	s_or_b32 exec_lo, exec_lo, s0
	v_mul_u64_e32 v[16:17], s[12:13], v[8:9]
	s_delay_alu instid0(VALU_DEP_2) | instskip(SKIP_2) | instid1(VALU_DEP_2)
	v_min_i64 v[10:11], v[12:13], s[2:3]
	s_mov_b32 s14, 0
	s_mov_b32 s15, exec_lo
	v_add_nc_u64_e32 v[12:13], s[10:11], v[16:17]
	v_cmp_gt_i64_e32 vcc_lo, v[16:17], v[6:7]
	s_delay_alu instid0(VALU_DEP_2) | instskip(SKIP_2) | instid1(SALU_CYCLE_1)
	v_cmp_ge_i64_e64 s0, v[6:7], v[12:13]
	v_mov_b32_e32 v13, s14
	s_or_b32 s0, vcc_lo, s0
	v_cndmask_b32_e64 v12, 0, 1, s0
	s_delay_alu instid0(VALU_DEP_1) | instskip(NEXT) | instid1(VALU_DEP_1)
	v_add_nc_u64_e32 v[12:13], v[8:9], v[12:13]
	v_cmpx_le_i64_e64 v[12:13], v[10:11]
	s_cbranch_execz .LBB8_75
; %bb.73:
	global_load_b64 v[8:9], v2, s[4:5]
	v_mul_u64_e32 v[16:17], s[12:13], v[12:13]
	v_mov_b32_e32 v3, 0
	s_mul_u64 s[0:1], s[12:13], s[18:19]
	s_lshl_b64 s[42:43], s[16:17], 3
	s_lshl_b64 s[0:1], s[0:1], 3
	s_delay_alu instid0(VALU_DEP_1) | instskip(SKIP_3) | instid1(VALU_DEP_4)
	v_mov_b32_e32 v5, v3
	s_wait_xcnt 0x0
	v_add_nc_u64_e32 v[2:3], s[4:5], v[2:3]
	s_sub_nc_u64 s[0:1], s[42:43], s[0:1]
	v_sub_nc_u64_e32 v[6:7], v[6:7], v[16:17]
	v_mul_u64_e32 v[16:17], s[16:17], v[12:13]
	s_delay_alu instid0(VALU_DEP_2) | instskip(NEXT) | instid1(VALU_DEP_2)
	v_mul_u64_e32 v[6:7], s[18:19], v[6:7]
	v_lshlrev_b64_e32 v[16:17], 3, v[16:17]
	s_delay_alu instid0(VALU_DEP_1) | instskip(NEXT) | instid1(VALU_DEP_1)
	v_lshl_add_u64 v[6:7], v[6:7], 3, v[16:17]
	v_add_nc_u64_e32 v[6:7], v[6:7], v[4:5]
	v_add_nc_u64_e32 v[4:5], -1, v[12:13]
	s_delay_alu instid0(VALU_DEP_2)
	v_add_nc_u64_e32 v[6:7], s[6:7], v[6:7]
.LBB8_74:                               ; =>This Inner Loop Header: Depth=1
	global_load_b64 v[12:13], v[6:7], off
	v_add_nc_u64_e32 v[4:5], 1, v[4:5]
	s_wait_xcnt 0x0
	v_add_nc_u64_e32 v[6:7], s[0:1], v[6:7]
	s_delay_alu instid0(VALU_DEP_2)
	v_cmp_ge_i64_e32 vcc_lo, v[4:5], v[10:11]
	s_or_b32 s14, vcc_lo, s14
	s_wait_loadcnt 0x0
	v_pk_add_f32 v[8:9], v[8:9], v[12:13]
	global_store_b64 v[2:3], v[8:9], off
	s_wait_xcnt 0x0
	s_and_not1_b32 exec_lo, exec_lo, s14
	s_cbranch_execnz .LBB8_74
.LBB8_75:
	s_or_b32 exec_lo, exec_lo, s15
	v_add_nc_u32_e32 v0, 0x100, v0
	s_or_b32 exec_lo, exec_lo, s29
	s_delay_alu instid0(SALU_CYCLE_1) | instskip(NEXT) | instid1(VALU_DEP_1)
	s_mov_b32 s0, exec_lo
	v_cmpx_gt_i32_e64 s31, v0
	s_cbranch_execz .LBB8_99
.LBB8_76:
	v_cmp_ne_u32_e32 vcc_lo, 1, v14
	s_cbranch_vccnz .LBB8_83
; %bb.77:
	v_dual_mov_b32 v3, 0 :: v_dual_mov_b32 v4, 0
	v_mov_b32_e32 v2, 0
	s_and_not1_b32 vcc_lo, exec_lo, s33
	s_cbranch_vccnz .LBB8_82
; %bb.78:
	v_dual_mov_b32 v2, 0 :: v_dual_mov_b32 v1, v0
	v_dual_mov_b32 v4, 0 :: v_dual_mov_b32 v3, 0
	s_add_co_i32 s14, s22, 1
	s_mov_b64 s[0:1], 0xffffffffffffffe8
	s_and_b32 s14, s14, 30
	s_add_nc_u64 s[0:1], s[40:41], s[0:1]
.LBB8_79:                               ; =>This Inner Loop Header: Depth=1
	s_clause 0x1
	s_load_b128 s[40:43], s[0:1], 0x1c
	s_load_b64 s[48:49], s[0:1], 0x2c
	s_add_co_i32 s14, s14, -2
	s_delay_alu instid0(SALU_CYCLE_1) | instskip(SKIP_2) | instid1(VALU_DEP_1)
	s_cmp_eq_u32 s14, 0
	s_wait_kmcnt 0x0
	v_mul_hi_u32 v5, s41, v1
	v_add_nc_u32_e32 v5, v1, v5
	s_delay_alu instid0(VALU_DEP_1) | instskip(NEXT) | instid1(VALU_DEP_1)
	v_lshrrev_b32_e32 v5, s42, v5
	v_mul_hi_u32 v6, s48, v5
	v_mul_lo_u32 v7, v5, s40
	s_clause 0x1
	s_load_b128 s[44:47], s[0:1], 0xdc
	s_load_b64 s[40:41], s[0:1], 0xec
	s_wait_xcnt 0x0
	s_add_nc_u64 s[0:1], s[0:1], 24
	s_delay_alu instid0(VALU_DEP_2) | instskip(NEXT) | instid1(VALU_DEP_1)
	v_add_nc_u32_e32 v6, v5, v6
	v_dual_sub_nc_u32 v7, v1, v7 :: v_dual_lshrrev_b32 v1, s49, v6
	s_wait_kmcnt 0x0
	s_delay_alu instid0(VALU_DEP_1) | instskip(NEXT) | instid1(VALU_DEP_2)
	v_mad_u32 v2, v7, s44, v2
	v_mul_lo_u32 v6, v1, s43
	v_mad_u32 v3, v7, s46, v3
	v_mad_u32 v4, v7, s45, v4
	s_delay_alu instid0(VALU_DEP_3) | instskip(NEXT) | instid1(VALU_DEP_1)
	v_sub_nc_u32_e32 v5, v5, v6
	v_mad_u32 v2, v5, s47, v2
	s_delay_alu instid0(VALU_DEP_4) | instskip(NEXT) | instid1(VALU_DEP_4)
	v_mad_u32 v3, v5, s41, v3
	v_mad_u32 v4, v5, s40, v4
	s_cbranch_scc0 .LBB8_79
; %bb.80:
	s_bitcmp1_b32 s22, 0
	s_cselect_b32 s14, -1, 0
	s_delay_alu instid0(SALU_CYCLE_1)
	s_and_b32 vcc_lo, exec_lo, s14
	s_cbranch_vccnz .LBB8_82
; %bb.81:
	s_clause 0x1
	s_load_b96 s[40:42], s[0:1], 0x1c
	s_load_b96 s[44:46], s[0:1], 0xdc
	s_wait_kmcnt 0x0
	v_mul_hi_u32 v5, s41, v1
	s_delay_alu instid0(VALU_DEP_1) | instskip(NEXT) | instid1(VALU_DEP_1)
	v_add_nc_u32_e32 v5, v1, v5
	v_lshrrev_b32_e32 v5, s42, v5
	s_delay_alu instid0(VALU_DEP_1) | instskip(NEXT) | instid1(VALU_DEP_1)
	v_mul_lo_u32 v5, v5, s40
	v_sub_nc_u32_e32 v1, v1, v5
	s_delay_alu instid0(VALU_DEP_1)
	v_mad_u32 v2, v1, s44, v2
	v_mad_u32 v4, v1, s45, v4
	;; [unrolled: 1-line block ×3, first 2 shown]
.LBB8_82:
	s_cbranch_execz .LBB8_84
	s_branch .LBB8_86
.LBB8_83:
                                        ; implicit-def: $vgpr3
                                        ; implicit-def: $vgpr4
                                        ; implicit-def: $vgpr2
.LBB8_84:
	v_mov_b32_e32 v1, 0
	s_and_not1_b32 vcc_lo, exec_lo, s20
	s_delay_alu instid0(VALU_DEP_1) | instskip(NEXT) | instid1(VALU_DEP_1)
	v_mul_u64_e32 v[2:3], s[36:37], v[0:1]
	v_add_nc_u32_e32 v2, v0, v3
	s_delay_alu instid0(VALU_DEP_1) | instskip(NEXT) | instid1(VALU_DEP_1)
	v_lshrrev_b32_e32 v6, s23, v2
	v_mul_lo_u32 v2, v6, s21
	s_delay_alu instid0(VALU_DEP_1) | instskip(NEXT) | instid1(VALU_DEP_1)
	v_sub_nc_u32_e32 v0, v0, v2
	v_mul_lo_u32 v2, v0, s24
	v_mul_lo_u32 v3, v0, s26
	;; [unrolled: 1-line block ×3, first 2 shown]
	s_cbranch_vccnz .LBB8_86
; %bb.85:
	v_mov_b32_e32 v7, v1
	s_delay_alu instid0(VALU_DEP_1) | instskip(NEXT) | instid1(VALU_DEP_1)
	v_mul_u64_e32 v[0:1], s[38:39], v[6:7]
	v_add_nc_u32_e32 v0, v6, v1
	s_delay_alu instid0(VALU_DEP_1) | instskip(NEXT) | instid1(VALU_DEP_1)
	v_lshrrev_b32_e32 v0, s30, v0
	v_mul_lo_u32 v0, v0, s28
	s_delay_alu instid0(VALU_DEP_1) | instskip(NEXT) | instid1(VALU_DEP_1)
	v_sub_nc_u32_e32 v0, v6, v0
	v_mad_u32 v2, v0, s27, v2
	v_mad_u32 v4, v0, s34, v4
	;; [unrolled: 1-line block ×3, first 2 shown]
.LBB8_86:
	global_load_b64 v[0:1], v3, s[8:9]
	v_mov_b64_e32 v[6:7], 0
	s_mov_b32 s1, exec_lo
	s_wait_loadcnt 0x0
	v_cmpx_lt_i64_e64 s[10:11], v[0:1]
	s_cbranch_execz .LBB8_92
; %bb.87:
	v_sub_nc_u64_e64 v[10:11], v[0:1], s[10:11]
                                        ; implicit-def: $vgpr6_vgpr7
	s_mov_b32 s0, exec_lo
	s_delay_alu instid0(VALU_DEP_1) | instskip(NEXT) | instid1(VALU_DEP_1)
	v_dual_mov_b32 v8, 0 :: v_dual_bitop2_b32 v9, s13, v11 bitop3:0x54
	v_cmpx_ne_u64_e32 0, v[8:9]
	s_xor_b32 s20, exec_lo, s0
	s_cbranch_execz .LBB8_89
; %bb.88:
	s_ashr_i32 s8, s13, 31
	s_mov_b32 s29, 0
	s_mov_b32 s9, s8
	v_dual_mov_b32 v13, v8 :: v_dual_ashrrev_i32 v6, 31, v11
	s_add_nc_u64 s[14:15], s[12:13], s[8:9]
	v_mov_b32_e32 v15, v8
	s_xor_b64 s[14:15], s[14:15], s[8:9]
	s_delay_alu instid0(VALU_DEP_2)
	v_mov_b32_e32 v7, v6
	s_cvt_f32_u32 s0, s14
	s_cvt_f32_u32 s9, s15
	s_sub_nc_u64 s[24:25], 0, s[14:15]
	v_mov_b32_e32 v21, v8
	v_add_nc_u64_e32 v[10:11], v[10:11], v[6:7]
	s_fmamk_f32 s0, s9, 0x4f800000, s0
	v_mov_b32_e32 v9, v8
	s_delay_alu instid0(SALU_CYCLE_2) | instskip(NEXT) | instid1(VALU_DEP_2)
	v_s_rcp_f32 s0, s0
	v_xor_b32_e32 v12, v10, v6
	s_delay_alu instid0(VALU_DEP_3) | instskip(SKIP_1) | instid1(TRANS32_DEP_1)
	v_xor_b32_e32 v14, v11, v6
	v_xor_b32_e32 v6, s8, v6
	s_mul_f32 s0, s0, 0x5f7ffffc
	s_delay_alu instid0(SALU_CYCLE_3) | instskip(NEXT) | instid1(SALU_CYCLE_3)
	s_mul_f32 s9, s0, 0x2f800000
	s_trunc_f32 s9, s9
	s_delay_alu instid0(SALU_CYCLE_3) | instskip(SKIP_1) | instid1(SALU_CYCLE_2)
	s_fmamk_f32 s0, s9, 0xcf800000, s0
	s_cvt_u32_f32 s23, s9
	s_cvt_u32_f32 s22, s0
	s_delay_alu instid0(SALU_CYCLE_3) | instskip(NEXT) | instid1(SALU_CYCLE_1)
	s_mul_u64 s[26:27], s[24:25], s[22:23]
	s_mul_hi_u32 s31, s22, s27
	s_mul_i32 s30, s22, s27
	s_mul_hi_u32 s28, s22, s26
	s_mul_i32 s9, s23, s26
	s_add_nc_u64 s[30:31], s[28:29], s[30:31]
	s_mul_hi_u32 s0, s23, s26
	s_mul_hi_u32 s21, s23, s27
	s_add_co_u32 s9, s30, s9
	s_add_co_ci_u32 s28, s31, s0
	s_mul_i32 s26, s23, s27
	s_add_co_ci_u32 s27, s21, 0
	s_delay_alu instid0(SALU_CYCLE_1) | instskip(NEXT) | instid1(SALU_CYCLE_1)
	s_add_nc_u64 s[26:27], s[28:29], s[26:27]
	s_add_co_u32 s22, s22, s26
	s_cselect_b32 s0, -1, 0
	s_delay_alu instid0(SALU_CYCLE_1) | instskip(SKIP_1) | instid1(SALU_CYCLE_1)
	s_cmp_lg_u32 s0, 0
	s_add_co_ci_u32 s23, s23, s27
	s_mul_u64 s[24:25], s[24:25], s[22:23]
	s_delay_alu instid0(SALU_CYCLE_1)
	s_mul_hi_u32 s27, s22, s25
	s_mul_i32 s26, s22, s25
	s_mul_hi_u32 s28, s22, s24
	s_mul_i32 s9, s23, s24
	s_add_nc_u64 s[26:27], s[28:29], s[26:27]
	s_mul_hi_u32 s0, s23, s24
	s_mul_hi_u32 s21, s23, s25
	s_add_co_u32 s9, s26, s9
	s_add_co_ci_u32 s28, s27, s0
	s_mul_i32 s24, s23, s25
	s_add_co_ci_u32 s25, s21, 0
	s_delay_alu instid0(SALU_CYCLE_1) | instskip(NEXT) | instid1(SALU_CYCLE_1)
	s_add_nc_u64 s[24:25], s[28:29], s[24:25]
	s_add_co_u32 s0, s22, s24
	s_cselect_b32 s9, -1, 0
	v_mul_hi_u32 v20, v12, s0
	s_cmp_lg_u32 s9, 0
	s_add_co_ci_u32 s28, s23, s25
	s_mov_b64 s[22:23], 0xffffffff
	v_mul_u64_e32 v[16:17], s[28:29], v[12:13]
	s_and_b64 s[22:23], s[0:1], s[22:23]
	v_mul_u64_e32 v[18:19], s[28:29], v[14:15]
	v_mul_u64_e32 v[10:11], s[22:23], v[14:15]
	s_delay_alu instid0(VALU_DEP_3) | instskip(NEXT) | instid1(VALU_DEP_1)
	v_add_nc_u64_e32 v[16:17], v[20:21], v[16:17]
	v_add_co_u32 v3, vcc_lo, v16, v10
	s_delay_alu instid0(VALU_DEP_2) | instskip(SKIP_1) | instid1(VALU_DEP_1)
	v_add_co_ci_u32_e32 v8, vcc_lo, v17, v11, vcc_lo
	v_add_co_ci_u32_e32 v19, vcc_lo, 0, v19, vcc_lo
	v_add_nc_u64_e32 v[8:9], v[8:9], v[18:19]
	s_delay_alu instid0(VALU_DEP_1) | instskip(NEXT) | instid1(VALU_DEP_1)
	v_mul_u64_e32 v[10:11], s[14:15], v[8:9]
	v_sub_nc_u32_e32 v3, v14, v11
	s_delay_alu instid0(VALU_DEP_2) | instskip(NEXT) | instid1(VALU_DEP_1)
	v_sub_co_u32 v5, vcc_lo, v12, v10
	v_sub_co_ci_u32_e64 v14, null, v14, v11, vcc_lo
	s_delay_alu instid0(VALU_DEP_3) | instskip(NEXT) | instid1(VALU_DEP_3)
	v_subrev_co_ci_u32_e64 v3, null, s15, v3, vcc_lo
	v_sub_co_u32 v7, s0, v5, s14
	v_add_nc_u64_e32 v[12:13], 1, v[8:9]
	s_delay_alu instid0(VALU_DEP_3) | instskip(NEXT) | instid1(VALU_DEP_3)
	v_subrev_co_ci_u32_e64 v3, null, 0, v3, s0
	v_cmp_le_u32_e32 vcc_lo, s14, v7
	v_cndmask_b32_e64 v7, 0, -1, vcc_lo
	s_delay_alu instid0(VALU_DEP_3)
	v_cmp_le_u32_e32 vcc_lo, s15, v3
	v_cndmask_b32_e64 v10, 0, -1, vcc_lo
	v_cmp_le_u32_e32 vcc_lo, s14, v5
	v_cndmask_b32_e64 v5, 0, -1, vcc_lo
	;; [unrolled: 2-line block ×3, first 2 shown]
	v_cmp_eq_u32_e32 vcc_lo, s15, v3
	v_cndmask_b32_e32 v3, v10, v7, vcc_lo
	v_cmp_eq_u32_e32 vcc_lo, s15, v14
	v_add_nc_u64_e32 v[10:11], 2, v[8:9]
	v_cndmask_b32_e32 v5, v15, v5, vcc_lo
	s_delay_alu instid0(VALU_DEP_4) | instskip(NEXT) | instid1(VALU_DEP_2)
	v_cmp_ne_u32_e32 vcc_lo, 0, v3
	v_cmp_ne_u32_e64 s0, 0, v5
	s_delay_alu instid0(VALU_DEP_4) | instskip(NEXT) | instid1(VALU_DEP_1)
	v_dual_cndmask_b32 v3, v13, v11, vcc_lo :: v_dual_cndmask_b32 v5, v12, v10, vcc_lo
                                        ; implicit-def: $vgpr10_vgpr11
	v_dual_cndmask_b32 v3, v9, v3, s0 :: v_dual_cndmask_b32 v5, v8, v5, s0
	s_delay_alu instid0(VALU_DEP_1) | instskip(NEXT) | instid1(VALU_DEP_2)
	v_dual_mov_b32 v7, v6 :: v_dual_bitop2_b32 v9, v3, v6 bitop3:0x14
	v_xor_b32_e32 v8, v5, v6
	s_delay_alu instid0(VALU_DEP_1)
	v_sub_nc_u64_e32 v[6:7], v[8:9], v[6:7]
.LBB8_89:
	s_and_not1_saveexec_b32 s0, s20
	s_cbranch_execz .LBB8_91
; %bb.90:
	v_cvt_f32_u32_e32 v3, s12
	s_sub_co_i32 s8, 0, s12
	s_delay_alu instid0(VALU_DEP_1) | instskip(SKIP_1) | instid1(TRANS32_DEP_1)
	v_rcp_iflag_f32_e32 v3, v3
	v_nop
	v_mul_f32_e32 v3, 0x4f7ffffe, v3
	s_delay_alu instid0(VALU_DEP_1) | instskip(NEXT) | instid1(VALU_DEP_1)
	v_cvt_u32_f32_e32 v3, v3
	v_mul_lo_u32 v5, s8, v3
	s_delay_alu instid0(VALU_DEP_1) | instskip(NEXT) | instid1(VALU_DEP_1)
	v_mul_hi_u32 v5, v3, v5
	v_add_nc_u32_e32 v3, v3, v5
	s_delay_alu instid0(VALU_DEP_1) | instskip(NEXT) | instid1(VALU_DEP_1)
	v_mul_hi_u32 v3, v10, v3
	v_mul_lo_u32 v5, v3, s12
	s_delay_alu instid0(VALU_DEP_1) | instskip(NEXT) | instid1(VALU_DEP_1)
	v_dual_add_nc_u32 v6, 1, v3 :: v_dual_sub_nc_u32 v5, v10, v5
	v_subrev_nc_u32_e32 v7, s12, v5
	v_cmp_le_u32_e32 vcc_lo, s12, v5
	s_delay_alu instid0(VALU_DEP_2) | instskip(NEXT) | instid1(VALU_DEP_4)
	v_dual_cndmask_b32 v5, v5, v7, vcc_lo :: v_dual_mov_b32 v7, 0
	v_cndmask_b32_e32 v3, v3, v6, vcc_lo
	s_delay_alu instid0(VALU_DEP_2) | instskip(NEXT) | instid1(VALU_DEP_2)
	v_cmp_le_u32_e32 vcc_lo, s12, v5
	v_add_nc_u32_e32 v6, 1, v3
	s_delay_alu instid0(VALU_DEP_1)
	v_cndmask_b32_e32 v6, v3, v6, vcc_lo
.LBB8_91:
	s_or_b32 exec_lo, exec_lo, s0
.LBB8_92:
	s_delay_alu instid0(SALU_CYCLE_1) | instskip(SKIP_2) | instid1(VALU_DEP_1)
	s_or_b32 exec_lo, exec_lo, s1
	v_dual_mov_b32 v8, 0 :: v_dual_bitop2_b32 v9, s13, v1 bitop3:0x54
                                        ; implicit-def: $vgpr10_vgpr11
	s_mov_b32 s0, exec_lo
	v_cmpx_ne_u64_e32 0, v[8:9]
	s_xor_b32 s1, exec_lo, s0
	s_cbranch_execz .LBB8_94
; %bb.93:
	s_ashr_i32 s8, s13, 31
	s_mov_b32 s27, 0
	s_mov_b32 s9, s8
	v_dual_mov_b32 v15, v8 :: v_dual_ashrrev_i32 v10, 31, v1
	s_add_nc_u64 s[14:15], s[12:13], s[8:9]
	v_dual_mov_b32 v23, v8 :: v_dual_mov_b32 v9, v8
	s_xor_b64 s[14:15], s[14:15], s[8:9]
	s_delay_alu instid0(VALU_DEP_2) | instskip(SKIP_3) | instid1(VALU_DEP_1)
	v_mov_b32_e32 v11, v10
	s_cvt_f32_u32 s0, s14
	s_cvt_f32_u32 s9, s15
	s_sub_nc_u64 s[22:23], 0, s[14:15]
	v_add_nc_u64_e32 v[12:13], v[0:1], v[10:11]
	s_delay_alu instid0(SALU_CYCLE_1) | instskip(SKIP_1) | instid1(SALU_CYCLE_2)
	s_fmamk_f32 s0, s9, 0x4f800000, s0
	v_mov_b32_e32 v17, v8
	v_s_rcp_f32 s0, s0
	s_delay_alu instid0(VALU_DEP_2) | instskip(NEXT) | instid1(VALU_DEP_3)
	v_xor_b32_e32 v14, v12, v10
	v_xor_b32_e32 v16, v13, v10
	;; [unrolled: 1-line block ×3, first 2 shown]
	s_delay_alu instid0(TRANS32_DEP_1) | instskip(NEXT) | instid1(SALU_CYCLE_3)
	s_mul_f32 s0, s0, 0x5f7ffffc
	s_mul_f32 s9, s0, 0x2f800000
	s_delay_alu instid0(SALU_CYCLE_3) | instskip(NEXT) | instid1(SALU_CYCLE_3)
	s_trunc_f32 s9, s9
	s_fmamk_f32 s0, s9, 0xcf800000, s0
	s_cvt_u32_f32 s21, s9
	s_delay_alu instid0(SALU_CYCLE_2) | instskip(NEXT) | instid1(SALU_CYCLE_3)
	s_cvt_u32_f32 s20, s0
	s_mul_u64 s[24:25], s[22:23], s[20:21]
	s_delay_alu instid0(SALU_CYCLE_1)
	s_mul_hi_u32 s29, s20, s25
	s_mul_i32 s28, s20, s25
	s_mul_hi_u32 s26, s20, s24
	s_mul_i32 s9, s21, s24
	s_add_nc_u64 s[28:29], s[26:27], s[28:29]
	s_mul_hi_u32 s0, s21, s24
	s_mul_hi_u32 s30, s21, s25
	s_add_co_u32 s9, s28, s9
	s_add_co_ci_u32 s26, s29, s0
	s_mul_i32 s24, s21, s25
	s_add_co_ci_u32 s25, s30, 0
	s_delay_alu instid0(SALU_CYCLE_1) | instskip(NEXT) | instid1(SALU_CYCLE_1)
	s_add_nc_u64 s[24:25], s[26:27], s[24:25]
	s_add_co_u32 s20, s20, s24
	s_cselect_b32 s0, -1, 0
	s_delay_alu instid0(SALU_CYCLE_1) | instskip(SKIP_1) | instid1(SALU_CYCLE_1)
	s_cmp_lg_u32 s0, 0
	s_add_co_ci_u32 s21, s21, s25
	s_mul_u64 s[22:23], s[22:23], s[20:21]
	s_delay_alu instid0(SALU_CYCLE_1)
	s_mul_hi_u32 s25, s20, s23
	s_mul_i32 s24, s20, s23
	s_mul_hi_u32 s26, s20, s22
	s_mul_i32 s9, s21, s22
	s_add_nc_u64 s[24:25], s[26:27], s[24:25]
	s_mul_hi_u32 s0, s21, s22
	s_mul_hi_u32 s28, s21, s23
	s_add_co_u32 s9, s24, s9
	s_add_co_ci_u32 s26, s25, s0
	s_mul_i32 s22, s21, s23
	s_add_co_ci_u32 s23, s28, 0
	s_delay_alu instid0(SALU_CYCLE_1) | instskip(NEXT) | instid1(SALU_CYCLE_1)
	s_add_nc_u64 s[22:23], s[26:27], s[22:23]
	s_add_co_u32 s0, s20, s22
	s_cselect_b32 s9, -1, 0
	v_mul_hi_u32 v22, v14, s0
	s_cmp_lg_u32 s9, 0
	s_add_co_ci_u32 s26, s21, s23
	s_mov_b64 s[20:21], 0xffffffff
	v_mul_u64_e32 v[18:19], s[26:27], v[14:15]
	s_and_b64 s[20:21], s[0:1], s[20:21]
	v_mul_u64_e32 v[20:21], s[26:27], v[16:17]
	v_mul_u64_e32 v[12:13], s[20:21], v[16:17]
	s_delay_alu instid0(VALU_DEP_3) | instskip(NEXT) | instid1(VALU_DEP_1)
	v_add_nc_u64_e32 v[18:19], v[22:23], v[18:19]
	v_add_co_u32 v3, vcc_lo, v18, v12
	s_delay_alu instid0(VALU_DEP_2) | instskip(SKIP_1) | instid1(VALU_DEP_1)
	v_add_co_ci_u32_e32 v8, vcc_lo, v19, v13, vcc_lo
	v_add_co_ci_u32_e32 v21, vcc_lo, 0, v21, vcc_lo
	v_add_nc_u64_e32 v[8:9], v[8:9], v[20:21]
	s_delay_alu instid0(VALU_DEP_1) | instskip(NEXT) | instid1(VALU_DEP_1)
	v_mul_u64_e32 v[12:13], s[14:15], v[8:9]
	v_sub_co_u32 v5, vcc_lo, v14, v12
	v_add_nc_u64_e32 v[14:15], 1, v[8:9]
	s_delay_alu instid0(VALU_DEP_3) | instskip(SKIP_1) | instid1(VALU_DEP_4)
	v_sub_nc_u32_e32 v3, v16, v13
	v_sub_co_ci_u32_e64 v16, null, v16, v13, vcc_lo
	v_sub_co_u32 v11, s0, v5, s14
	s_delay_alu instid0(VALU_DEP_3) | instskip(NEXT) | instid1(VALU_DEP_2)
	v_subrev_co_ci_u32_e64 v3, null, s15, v3, vcc_lo
	v_cmp_le_u32_e32 vcc_lo, s14, v11
	s_delay_alu instid0(VALU_DEP_2) | instskip(SKIP_1) | instid1(VALU_DEP_2)
	v_subrev_co_ci_u32_e64 v3, null, 0, v3, s0
	v_cndmask_b32_e64 v11, 0, -1, vcc_lo
	v_cmp_le_u32_e32 vcc_lo, s15, v3
	v_cndmask_b32_e64 v12, 0, -1, vcc_lo
	v_cmp_le_u32_e32 vcc_lo, s14, v5
	;; [unrolled: 2-line block ×3, first 2 shown]
	v_cndmask_b32_e64 v17, 0, -1, vcc_lo
	v_cmp_eq_u32_e32 vcc_lo, s15, v3
	v_cndmask_b32_e32 v3, v12, v11, vcc_lo
	v_cmp_eq_u32_e32 vcc_lo, s15, v16
	v_add_nc_u64_e32 v[12:13], 2, v[8:9]
	v_cndmask_b32_e32 v5, v17, v5, vcc_lo
	s_delay_alu instid0(VALU_DEP_4) | instskip(NEXT) | instid1(VALU_DEP_2)
	v_cmp_ne_u32_e32 vcc_lo, 0, v3
	v_cmp_ne_u32_e64 s0, 0, v5
	s_delay_alu instid0(VALU_DEP_4) | instskip(NEXT) | instid1(VALU_DEP_1)
	v_dual_cndmask_b32 v3, v15, v13, vcc_lo :: v_dual_cndmask_b32 v5, v14, v12, vcc_lo
	v_dual_cndmask_b32 v3, v9, v3, s0 :: v_dual_cndmask_b32 v5, v8, v5, s0
	s_delay_alu instid0(VALU_DEP_1) | instskip(NEXT) | instid1(VALU_DEP_2)
	v_dual_mov_b32 v11, v10 :: v_dual_bitop2_b32 v9, v3, v10 bitop3:0x14
	v_xor_b32_e32 v8, v5, v10
	s_delay_alu instid0(VALU_DEP_1)
	v_sub_nc_u64_e32 v[10:11], v[8:9], v[10:11]
.LBB8_94:
	s_and_not1_saveexec_b32 s0, s1
	s_cbranch_execz .LBB8_96
; %bb.95:
	v_cvt_f32_u32_e32 v3, s12
	s_sub_co_i32 s1, 0, s12
	v_mov_b32_e32 v11, 0
	s_delay_alu instid0(VALU_DEP_2) | instskip(SKIP_1) | instid1(TRANS32_DEP_1)
	v_rcp_iflag_f32_e32 v3, v3
	v_nop
	v_mul_f32_e32 v3, 0x4f7ffffe, v3
	s_delay_alu instid0(VALU_DEP_1) | instskip(NEXT) | instid1(VALU_DEP_1)
	v_cvt_u32_f32_e32 v3, v3
	v_mul_lo_u32 v5, s1, v3
	s_delay_alu instid0(VALU_DEP_1) | instskip(NEXT) | instid1(VALU_DEP_1)
	v_mul_hi_u32 v5, v3, v5
	v_add_nc_u32_e32 v3, v3, v5
	s_delay_alu instid0(VALU_DEP_1) | instskip(NEXT) | instid1(VALU_DEP_1)
	v_mul_hi_u32 v3, v0, v3
	v_mul_lo_u32 v5, v3, s12
	s_delay_alu instid0(VALU_DEP_1) | instskip(NEXT) | instid1(VALU_DEP_1)
	v_sub_nc_u32_e32 v5, v0, v5
	v_subrev_nc_u32_e32 v9, s12, v5
	v_cmp_le_u32_e32 vcc_lo, s12, v5
	s_delay_alu instid0(VALU_DEP_2) | instskip(NEXT) | instid1(VALU_DEP_1)
	v_dual_cndmask_b32 v5, v5, v9 :: v_dual_add_nc_u32 v8, 1, v3
	v_cndmask_b32_e32 v3, v3, v8, vcc_lo
	s_delay_alu instid0(VALU_DEP_2) | instskip(NEXT) | instid1(VALU_DEP_2)
	v_cmp_le_u32_e32 vcc_lo, s12, v5
	v_add_nc_u32_e32 v8, 1, v3
	s_delay_alu instid0(VALU_DEP_1)
	v_cndmask_b32_e32 v10, v3, v8, vcc_lo
.LBB8_96:
	s_or_b32 exec_lo, exec_lo, s0
	v_mul_u64_e32 v[12:13], s[12:13], v[6:7]
	s_delay_alu instid0(VALU_DEP_2) | instskip(SKIP_1) | instid1(VALU_DEP_2)
	v_min_i64 v[8:9], v[10:11], s[2:3]
	s_mov_b32 s2, 0
	v_add_nc_u64_e32 v[10:11], s[10:11], v[12:13]
	v_cmp_gt_i64_e32 vcc_lo, v[12:13], v[0:1]
	s_delay_alu instid0(VALU_DEP_2) | instskip(SKIP_2) | instid1(SALU_CYCLE_1)
	v_cmp_ge_i64_e64 s0, v[0:1], v[10:11]
	v_mov_b32_e32 v11, s2
	s_or_b32 s0, vcc_lo, s0
	v_cndmask_b32_e64 v10, 0, 1, s0
	s_delay_alu instid0(VALU_DEP_1) | instskip(NEXT) | instid1(VALU_DEP_1)
	v_add_nc_u64_e32 v[10:11], v[6:7], v[10:11]
	v_cmp_le_i64_e32 vcc_lo, v[10:11], v[8:9]
	s_and_b32 exec_lo, exec_lo, vcc_lo
	s_cbranch_execz .LBB8_99
; %bb.97:
	global_load_b64 v[6:7], v2, s[4:5]
	v_mul_u64_e32 v[12:13], s[12:13], v[10:11]
	v_mov_b32_e32 v3, 0
	s_mul_u64 s[0:1], s[12:13], s[18:19]
	s_delay_alu instid0(SALU_CYCLE_1) | instskip(NEXT) | instid1(VALU_DEP_1)
	s_lshl_b64 s[0:1], s[0:1], 3
	v_mov_b32_e32 v5, v3
	s_delay_alu instid0(VALU_DEP_3) | instskip(SKIP_1) | instid1(VALU_DEP_2)
	v_sub_nc_u64_e32 v[0:1], v[0:1], v[12:13]
	v_mul_u64_e32 v[12:13], s[16:17], v[10:11]
	v_mul_u64_e32 v[0:1], s[18:19], v[0:1]
	s_delay_alu instid0(VALU_DEP_2) | instskip(NEXT) | instid1(VALU_DEP_1)
	v_lshlrev_b64_e32 v[12:13], 3, v[12:13]
	v_lshl_add_u64 v[0:1], v[0:1], 3, v[12:13]
	s_delay_alu instid0(VALU_DEP_1) | instskip(SKIP_4) | instid1(SALU_CYCLE_1)
	v_add_nc_u64_e32 v[4:5], v[0:1], v[4:5]
	v_add_nc_u64_e32 v[0:1], s[4:5], v[2:3]
	s_wait_xcnt 0x0
	v_add_nc_u64_e32 v[2:3], -1, v[10:11]
	s_lshl_b64 s[4:5], s[16:17], 3
	s_sub_nc_u64 s[0:1], s[4:5], s[0:1]
	s_delay_alu instid0(VALU_DEP_3)
	v_add_nc_u64_e32 v[4:5], s[6:7], v[4:5]
.LBB8_98:                               ; =>This Inner Loop Header: Depth=1
	global_load_b64 v[10:11], v[4:5], off
	v_add_nc_u64_e32 v[2:3], 1, v[2:3]
	s_wait_xcnt 0x0
	v_add_nc_u64_e32 v[4:5], s[0:1], v[4:5]
	s_delay_alu instid0(VALU_DEP_2)
	v_cmp_ge_i64_e32 vcc_lo, v[2:3], v[8:9]
	s_or_b32 s2, vcc_lo, s2
	s_wait_loadcnt 0x0
	v_pk_add_f32 v[6:7], v[6:7], v[10:11]
	global_store_b64 v[0:1], v[6:7], off
	s_wait_xcnt 0x0
	s_and_not1_b32 exec_lo, exec_lo, s2
	s_cbranch_execnz .LBB8_98
.LBB8_99:
	s_endpgm
	.section	.rodata,"a",@progbits
	.p2align	6, 0x0
	.amdhsa_kernel _ZN2at6native12_GLOBAL__N_135_unfold_backward_elementwise_kernelILi256ELi4EZNS1_32_unfold_backward_internal_kernelIN3c107complexIfEEEEvRNS_14TensorIteratorEllllllEUliE_EEviT1_
		.amdhsa_group_segment_fixed_size 0
		.amdhsa_private_segment_fixed_size 0
		.amdhsa_kernarg_size 464
		.amdhsa_user_sgpr_count 2
		.amdhsa_user_sgpr_dispatch_ptr 0
		.amdhsa_user_sgpr_queue_ptr 0
		.amdhsa_user_sgpr_kernarg_segment_ptr 1
		.amdhsa_user_sgpr_dispatch_id 0
		.amdhsa_user_sgpr_kernarg_preload_length 0
		.amdhsa_user_sgpr_kernarg_preload_offset 0
		.amdhsa_user_sgpr_private_segment_size 0
		.amdhsa_wavefront_size32 1
		.amdhsa_uses_dynamic_stack 0
		.amdhsa_enable_private_segment 0
		.amdhsa_system_sgpr_workgroup_id_x 1
		.amdhsa_system_sgpr_workgroup_id_y 0
		.amdhsa_system_sgpr_workgroup_id_z 0
		.amdhsa_system_sgpr_workgroup_info 0
		.amdhsa_system_vgpr_workitem_id 0
		.amdhsa_next_free_vgpr 28
		.amdhsa_next_free_sgpr 56
		.amdhsa_named_barrier_count 0
		.amdhsa_reserve_vcc 1
		.amdhsa_float_round_mode_32 0
		.amdhsa_float_round_mode_16_64 0
		.amdhsa_float_denorm_mode_32 3
		.amdhsa_float_denorm_mode_16_64 3
		.amdhsa_fp16_overflow 0
		.amdhsa_memory_ordered 1
		.amdhsa_forward_progress 1
		.amdhsa_inst_pref_size 77
		.amdhsa_round_robin_scheduling 0
		.amdhsa_exception_fp_ieee_invalid_op 0
		.amdhsa_exception_fp_denorm_src 0
		.amdhsa_exception_fp_ieee_div_zero 0
		.amdhsa_exception_fp_ieee_overflow 0
		.amdhsa_exception_fp_ieee_underflow 0
		.amdhsa_exception_fp_ieee_inexact 0
		.amdhsa_exception_int_div_zero 0
	.end_amdhsa_kernel
	.section	.text._ZN2at6native12_GLOBAL__N_135_unfold_backward_elementwise_kernelILi256ELi4EZNS1_32_unfold_backward_internal_kernelIN3c107complexIfEEEEvRNS_14TensorIteratorEllllllEUliE_EEviT1_,"axG",@progbits,_ZN2at6native12_GLOBAL__N_135_unfold_backward_elementwise_kernelILi256ELi4EZNS1_32_unfold_backward_internal_kernelIN3c107complexIfEEEEvRNS_14TensorIteratorEllllllEUliE_EEviT1_,comdat
.Lfunc_end8:
	.size	_ZN2at6native12_GLOBAL__N_135_unfold_backward_elementwise_kernelILi256ELi4EZNS1_32_unfold_backward_internal_kernelIN3c107complexIfEEEEvRNS_14TensorIteratorEllllllEUliE_EEviT1_, .Lfunc_end8-_ZN2at6native12_GLOBAL__N_135_unfold_backward_elementwise_kernelILi256ELi4EZNS1_32_unfold_backward_internal_kernelIN3c107complexIfEEEEvRNS_14TensorIteratorEllllllEUliE_EEviT1_
                                        ; -- End function
	.set _ZN2at6native12_GLOBAL__N_135_unfold_backward_elementwise_kernelILi256ELi4EZNS1_32_unfold_backward_internal_kernelIN3c107complexIfEEEEvRNS_14TensorIteratorEllllllEUliE_EEviT1_.num_vgpr, 28
	.set _ZN2at6native12_GLOBAL__N_135_unfold_backward_elementwise_kernelILi256ELi4EZNS1_32_unfold_backward_internal_kernelIN3c107complexIfEEEEvRNS_14TensorIteratorEllllllEUliE_EEviT1_.num_agpr, 0
	.set _ZN2at6native12_GLOBAL__N_135_unfold_backward_elementwise_kernelILi256ELi4EZNS1_32_unfold_backward_internal_kernelIN3c107complexIfEEEEvRNS_14TensorIteratorEllllllEUliE_EEviT1_.numbered_sgpr, 56
	.set _ZN2at6native12_GLOBAL__N_135_unfold_backward_elementwise_kernelILi256ELi4EZNS1_32_unfold_backward_internal_kernelIN3c107complexIfEEEEvRNS_14TensorIteratorEllllllEUliE_EEviT1_.num_named_barrier, 0
	.set _ZN2at6native12_GLOBAL__N_135_unfold_backward_elementwise_kernelILi256ELi4EZNS1_32_unfold_backward_internal_kernelIN3c107complexIfEEEEvRNS_14TensorIteratorEllllllEUliE_EEviT1_.private_seg_size, 0
	.set _ZN2at6native12_GLOBAL__N_135_unfold_backward_elementwise_kernelILi256ELi4EZNS1_32_unfold_backward_internal_kernelIN3c107complexIfEEEEvRNS_14TensorIteratorEllllllEUliE_EEviT1_.uses_vcc, 1
	.set _ZN2at6native12_GLOBAL__N_135_unfold_backward_elementwise_kernelILi256ELi4EZNS1_32_unfold_backward_internal_kernelIN3c107complexIfEEEEvRNS_14TensorIteratorEllllllEUliE_EEviT1_.uses_flat_scratch, 0
	.set _ZN2at6native12_GLOBAL__N_135_unfold_backward_elementwise_kernelILi256ELi4EZNS1_32_unfold_backward_internal_kernelIN3c107complexIfEEEEvRNS_14TensorIteratorEllllllEUliE_EEviT1_.has_dyn_sized_stack, 0
	.set _ZN2at6native12_GLOBAL__N_135_unfold_backward_elementwise_kernelILi256ELi4EZNS1_32_unfold_backward_internal_kernelIN3c107complexIfEEEEvRNS_14TensorIteratorEllllllEUliE_EEviT1_.has_recursion, 0
	.set _ZN2at6native12_GLOBAL__N_135_unfold_backward_elementwise_kernelILi256ELi4EZNS1_32_unfold_backward_internal_kernelIN3c107complexIfEEEEvRNS_14TensorIteratorEllllllEUliE_EEviT1_.has_indirect_call, 0
	.section	.AMDGPU.csdata,"",@progbits
; Kernel info:
; codeLenInByte = 9732
; TotalNumSgprs: 58
; NumVgprs: 28
; ScratchSize: 0
; MemoryBound: 0
; FloatMode: 240
; IeeeMode: 1
; LDSByteSize: 0 bytes/workgroup (compile time only)
; SGPRBlocks: 0
; VGPRBlocks: 1
; NumSGPRsForWavesPerEU: 58
; NumVGPRsForWavesPerEU: 28
; NamedBarCnt: 0
; Occupancy: 16
; WaveLimiterHint : 1
; COMPUTE_PGM_RSRC2:SCRATCH_EN: 0
; COMPUTE_PGM_RSRC2:USER_SGPR: 2
; COMPUTE_PGM_RSRC2:TRAP_HANDLER: 0
; COMPUTE_PGM_RSRC2:TGID_X_EN: 1
; COMPUTE_PGM_RSRC2:TGID_Y_EN: 0
; COMPUTE_PGM_RSRC2:TGID_Z_EN: 0
; COMPUTE_PGM_RSRC2:TIDIG_COMP_CNT: 0
	.section	.text._ZN2at6native12_GLOBAL__N_135_unfold_backward_elementwise_kernelILi256ELi4EZNS1_32_unfold_backward_internal_kernelIN3c104HalfEEEvRNS_14TensorIteratorEllllllEUliE_EEviT1_,"axG",@progbits,_ZN2at6native12_GLOBAL__N_135_unfold_backward_elementwise_kernelILi256ELi4EZNS1_32_unfold_backward_internal_kernelIN3c104HalfEEEvRNS_14TensorIteratorEllllllEUliE_EEviT1_,comdat
	.globl	_ZN2at6native12_GLOBAL__N_135_unfold_backward_elementwise_kernelILi256ELi4EZNS1_32_unfold_backward_internal_kernelIN3c104HalfEEEvRNS_14TensorIteratorEllllllEUliE_EEviT1_ ; -- Begin function _ZN2at6native12_GLOBAL__N_135_unfold_backward_elementwise_kernelILi256ELi4EZNS1_32_unfold_backward_internal_kernelIN3c104HalfEEEvRNS_14TensorIteratorEllllllEUliE_EEviT1_
	.p2align	8
	.type	_ZN2at6native12_GLOBAL__N_135_unfold_backward_elementwise_kernelILi256ELi4EZNS1_32_unfold_backward_internal_kernelIN3c104HalfEEEvRNS_14TensorIteratorEllllllEUliE_EEviT1_,@function
_ZN2at6native12_GLOBAL__N_135_unfold_backward_elementwise_kernelILi256ELi4EZNS1_32_unfold_backward_internal_kernelIN3c104HalfEEEvRNS_14TensorIteratorEllllllEUliE_EEviT1_: ; @_ZN2at6native12_GLOBAL__N_135_unfold_backward_elementwise_kernelILi256ELi4EZNS1_32_unfold_backward_internal_kernelIN3c104HalfEEEvRNS_14TensorIteratorEllllllEUliE_EEviT1_
; %bb.0:
	s_clause 0x2
	s_load_b128 s[20:23], s[0:1], 0x8
	s_load_b32 s31, s[0:1], 0x0
	s_load_b512 s[4:19], s[0:1], 0x190
	s_bfe_u32 s3, ttmp6, 0x4000c
	s_clause 0x2
	s_load_b96 s[28:30], s[0:1], 0x18
	s_load_b128 s[24:27], s[0:1], 0xcc
	s_load_b64 s[34:35], s[0:1], 0xdc
	s_add_co_i32 s3, s3, 1
	s_and_b32 s2, ttmp6, 15
	s_mul_i32 s3, ttmp9, s3
	s_getreg_b32 s33, hwreg(HW_REG_IB_STS2, 6, 4)
	s_add_co_i32 s2, s2, s3
	s_add_nc_u64 s[40:41], s[0:1], 8
	s_cmp_eq_u32 s33, 0
	s_mov_b32 s37, 0
	s_cselect_b32 s2, ttmp9, s2
	s_mov_b32 s42, -1
	v_lshl_or_b32 v0, s2, 10, v0
	s_mov_b32 s39, s37
	s_wait_kmcnt 0x0
	v_sub_co_u32 v1, s3, s20, 1
	s_mov_b32 s36, s22
	s_xor_b32 s33, s3, -1
	s_mov_b32 s38, s29
	v_readfirstlane_b32 s1, v1
	v_cmp_lt_u32_e32 vcc_lo, 1, v1
	s_add_nc_u64 s[2:3], s[14:15], -1
	s_mov_b32 s29, exec_lo
	s_min_u32 s22, s1, 15
	v_cndmask_b32_e64 v14, 0, 1, vcc_lo
	s_cmp_gt_u32 s20, 1
	s_cselect_b32 s20, -1, 0
	v_cmpx_gt_i32_e64 s31, v0
	s_cbranch_execnz .LBB9_4
; %bb.1:
	s_or_b32 exec_lo, exec_lo, s29
	s_delay_alu instid0(SALU_CYCLE_1)
	s_mov_b32 s29, exec_lo
	v_cmpx_gt_i32_e64 s31, v0
	s_cbranch_execnz .LBB9_28
.LBB9_2:
	s_or_b32 exec_lo, exec_lo, s29
	s_delay_alu instid0(SALU_CYCLE_1)
	s_mov_b32 s29, exec_lo
	v_cmpx_gt_i32_e64 s31, v0
	s_cbranch_execnz .LBB9_52
.LBB9_3:
	s_or_b32 exec_lo, exec_lo, s29
	s_delay_alu instid0(SALU_CYCLE_1)
	s_mov_b32 s0, exec_lo
	v_cmpx_gt_i32_e64 s31, v0
	s_cbranch_execnz .LBB9_76
	s_branch .LBB9_99
.LBB9_4:
	s_and_not1_b32 vcc_lo, exec_lo, vcc_lo
                                        ; implicit-def: $vgpr3
                                        ; implicit-def: $vgpr4
                                        ; implicit-def: $vgpr2
	s_cbranch_vccnz .LBB9_11
; %bb.5:
	v_dual_mov_b32 v3, 0 :: v_dual_mov_b32 v4, 0
	v_mov_b32_e32 v2, 0
	s_and_not1_b32 vcc_lo, exec_lo, s33
	s_cbranch_vccnz .LBB9_10
; %bb.6:
	v_dual_mov_b32 v2, 0 :: v_dual_mov_b32 v1, v0
	v_dual_mov_b32 v4, 0 :: v_dual_mov_b32 v3, 0
	s_add_co_i32 s14, s22, 1
	s_mov_b64 s[0:1], 0xffffffffffffffe8
	s_and_b32 s14, s14, 30
	s_add_nc_u64 s[0:1], s[40:41], s[0:1]
.LBB9_7:                                ; =>This Inner Loop Header: Depth=1
	s_clause 0x1
	s_load_b128 s[44:47], s[0:1], 0x1c
	s_load_b64 s[42:43], s[0:1], 0x2c
	s_add_co_i32 s14, s14, -2
	s_delay_alu instid0(SALU_CYCLE_1) | instskip(SKIP_2) | instid1(VALU_DEP_1)
	s_cmp_lg_u32 s14, 0
	s_wait_kmcnt 0x0
	v_mul_hi_u32 v5, s45, v1
	v_add_nc_u32_e32 v5, v1, v5
	s_delay_alu instid0(VALU_DEP_1) | instskip(NEXT) | instid1(VALU_DEP_1)
	v_lshrrev_b32_e32 v5, s46, v5
	v_mul_hi_u32 v6, s42, v5
	v_mul_lo_u32 v7, v5, s44
	s_clause 0x1
	s_load_b128 s[48:51], s[0:1], 0xdc
	s_load_b64 s[44:45], s[0:1], 0xec
	s_wait_xcnt 0x0
	s_add_nc_u64 s[0:1], s[0:1], 24
	s_delay_alu instid0(VALU_DEP_2) | instskip(NEXT) | instid1(VALU_DEP_1)
	v_add_nc_u32_e32 v6, v5, v6
	v_dual_sub_nc_u32 v7, v1, v7 :: v_dual_lshrrev_b32 v1, s43, v6
	s_wait_kmcnt 0x0
	s_delay_alu instid0(VALU_DEP_1) | instskip(NEXT) | instid1(VALU_DEP_2)
	v_mad_u32 v2, v7, s48, v2
	v_mul_lo_u32 v6, v1, s47
	v_mad_u32 v3, v7, s50, v3
	v_mad_u32 v4, v7, s49, v4
	s_delay_alu instid0(VALU_DEP_3) | instskip(NEXT) | instid1(VALU_DEP_1)
	v_sub_nc_u32_e32 v5, v5, v6
	v_mad_u32 v2, v5, s51, v2
	s_delay_alu instid0(VALU_DEP_4) | instskip(NEXT) | instid1(VALU_DEP_4)
	v_mad_u32 v3, v5, s45, v3
	v_mad_u32 v4, v5, s44, v4
	s_cbranch_scc1 .LBB9_7
; %bb.8:
	s_bitcmp1_b32 s22, 0
	s_cselect_b32 s14, -1, 0
	s_delay_alu instid0(SALU_CYCLE_1)
	s_and_b32 vcc_lo, exec_lo, s14
	s_cbranch_vccnz .LBB9_10
; %bb.9:
	s_clause 0x1
	s_load_b96 s[44:46], s[0:1], 0x1c
	s_load_b96 s[48:50], s[0:1], 0xdc
	s_wait_kmcnt 0x0
	v_mul_hi_u32 v5, s45, v1
	s_delay_alu instid0(VALU_DEP_1) | instskip(NEXT) | instid1(VALU_DEP_1)
	v_add_nc_u32_e32 v5, v1, v5
	v_lshrrev_b32_e32 v5, s46, v5
	s_delay_alu instid0(VALU_DEP_1) | instskip(NEXT) | instid1(VALU_DEP_1)
	v_mul_lo_u32 v5, v5, s44
	v_sub_nc_u32_e32 v1, v1, v5
	s_delay_alu instid0(VALU_DEP_1)
	v_mad_u32 v2, v1, s48, v2
	v_mad_u32 v4, v1, s49, v4
	;; [unrolled: 1-line block ×3, first 2 shown]
.LBB9_10:
	s_mov_b32 s42, 0
.LBB9_11:
	s_delay_alu instid0(SALU_CYCLE_1)
	s_and_not1_b32 vcc_lo, exec_lo, s42
	s_cbranch_vccnz .LBB9_14
; %bb.12:
	v_mov_b32_e32 v1, 0
	s_and_not1_b32 vcc_lo, exec_lo, s20
	s_delay_alu instid0(VALU_DEP_1) | instskip(NEXT) | instid1(VALU_DEP_1)
	v_mul_u64_e32 v[2:3], s[36:37], v[0:1]
	v_add_nc_u32_e32 v2, v0, v3
	s_delay_alu instid0(VALU_DEP_1) | instskip(NEXT) | instid1(VALU_DEP_1)
	v_lshrrev_b32_e32 v6, s23, v2
	v_mul_lo_u32 v2, v6, s21
	s_delay_alu instid0(VALU_DEP_1) | instskip(NEXT) | instid1(VALU_DEP_1)
	v_sub_nc_u32_e32 v4, v0, v2
	v_mul_lo_u32 v2, v4, s24
	v_mul_lo_u32 v3, v4, s26
	;; [unrolled: 1-line block ×3, first 2 shown]
	s_cbranch_vccnz .LBB9_14
; %bb.13:
	v_mov_b32_e32 v7, v1
	s_delay_alu instid0(VALU_DEP_1) | instskip(NEXT) | instid1(VALU_DEP_1)
	v_mul_u64_e32 v[8:9], s[38:39], v[6:7]
	v_add_nc_u32_e32 v1, v6, v9
	s_delay_alu instid0(VALU_DEP_1) | instskip(NEXT) | instid1(VALU_DEP_1)
	v_lshrrev_b32_e32 v1, s30, v1
	v_mul_lo_u32 v1, v1, s28
	s_delay_alu instid0(VALU_DEP_1) | instskip(NEXT) | instid1(VALU_DEP_1)
	v_sub_nc_u32_e32 v1, v6, v1
	v_mad_u32 v2, v1, s27, v2
	v_mad_u32 v4, v1, s34, v4
	v_mad_u32 v3, v1, s35, v3
.LBB9_14:
	global_load_b64 v[6:7], v3, s[8:9]
	v_mov_b64_e32 v[8:9], 0
	s_mov_b32 s1, exec_lo
	s_wait_loadcnt 0x0
	v_cmpx_lt_i64_e64 s[10:11], v[6:7]
	s_cbranch_execz .LBB9_20
; %bb.15:
	v_sub_nc_u64_e64 v[12:13], v[6:7], s[10:11]
                                        ; implicit-def: $vgpr8_vgpr9
	s_mov_b32 s0, exec_lo
	s_delay_alu instid0(VALU_DEP_1) | instskip(NEXT) | instid1(VALU_DEP_1)
	v_dual_mov_b32 v10, 0 :: v_dual_bitop2_b32 v11, s13, v13 bitop3:0x54
	v_cmpx_ne_u64_e32 0, v[10:11]
	s_xor_b32 s44, exec_lo, s0
	s_cbranch_execz .LBB9_17
; %bb.16:
	s_ashr_i32 s14, s13, 31
	s_mov_b32 s53, 0
	s_mov_b32 s15, s14
	v_dual_mov_b32 v17, v10 :: v_dual_ashrrev_i32 v8, 31, v13
	s_add_nc_u64 s[42:43], s[12:13], s[14:15]
	v_mov_b32_e32 v19, v10
	s_xor_b64 s[42:43], s[42:43], s[14:15]
	s_delay_alu instid0(VALU_DEP_2)
	v_mov_b32_e32 v9, v8
	s_cvt_f32_u32 s0, s42
	s_cvt_f32_u32 s15, s43
	s_sub_nc_u64 s[48:49], 0, s[42:43]
	v_mov_b32_e32 v25, v10
	v_add_nc_u64_e32 v[12:13], v[12:13], v[8:9]
	s_fmamk_f32 s0, s15, 0x4f800000, s0
	v_mov_b32_e32 v11, v10
	s_delay_alu instid0(SALU_CYCLE_2) | instskip(NEXT) | instid1(VALU_DEP_2)
	v_s_rcp_f32 s0, s0
	v_xor_b32_e32 v16, v12, v8
	s_delay_alu instid0(VALU_DEP_3) | instskip(SKIP_1) | instid1(TRANS32_DEP_1)
	v_xor_b32_e32 v18, v13, v8
	v_xor_b32_e32 v8, s14, v8
	s_mul_f32 s0, s0, 0x5f7ffffc
	s_delay_alu instid0(SALU_CYCLE_3) | instskip(NEXT) | instid1(SALU_CYCLE_3)
	s_mul_f32 s15, s0, 0x2f800000
	s_trunc_f32 s15, s15
	s_delay_alu instid0(SALU_CYCLE_3) | instskip(SKIP_1) | instid1(SALU_CYCLE_2)
	s_fmamk_f32 s0, s15, 0xcf800000, s0
	s_cvt_u32_f32 s47, s15
	s_cvt_u32_f32 s46, s0
	s_delay_alu instid0(SALU_CYCLE_3) | instskip(NEXT) | instid1(SALU_CYCLE_1)
	s_mul_u64 s[50:51], s[48:49], s[46:47]
	s_mul_hi_u32 s55, s46, s51
	s_mul_i32 s54, s46, s51
	s_mul_hi_u32 s52, s46, s50
	s_mul_i32 s15, s47, s50
	s_add_nc_u64 s[54:55], s[52:53], s[54:55]
	s_mul_hi_u32 s0, s47, s50
	s_mul_hi_u32 s45, s47, s51
	s_add_co_u32 s15, s54, s15
	s_add_co_ci_u32 s52, s55, s0
	s_mul_i32 s50, s47, s51
	s_add_co_ci_u32 s51, s45, 0
	s_delay_alu instid0(SALU_CYCLE_1) | instskip(NEXT) | instid1(SALU_CYCLE_1)
	s_add_nc_u64 s[50:51], s[52:53], s[50:51]
	s_add_co_u32 s46, s46, s50
	s_cselect_b32 s0, -1, 0
	s_delay_alu instid0(SALU_CYCLE_1) | instskip(SKIP_1) | instid1(SALU_CYCLE_1)
	s_cmp_lg_u32 s0, 0
	s_add_co_ci_u32 s47, s47, s51
	s_mul_u64 s[48:49], s[48:49], s[46:47]
	s_delay_alu instid0(SALU_CYCLE_1)
	s_mul_hi_u32 s51, s46, s49
	s_mul_i32 s50, s46, s49
	s_mul_hi_u32 s52, s46, s48
	s_mul_i32 s15, s47, s48
	s_add_nc_u64 s[50:51], s[52:53], s[50:51]
	s_mul_hi_u32 s0, s47, s48
	s_mul_hi_u32 s45, s47, s49
	s_add_co_u32 s15, s50, s15
	s_add_co_ci_u32 s52, s51, s0
	s_mul_i32 s48, s47, s49
	s_add_co_ci_u32 s49, s45, 0
	s_delay_alu instid0(SALU_CYCLE_1) | instskip(NEXT) | instid1(SALU_CYCLE_1)
	s_add_nc_u64 s[48:49], s[52:53], s[48:49]
	s_add_co_u32 s0, s46, s48
	s_cselect_b32 s15, -1, 0
	v_mul_hi_u32 v24, v16, s0
	s_cmp_lg_u32 s15, 0
	s_add_co_ci_u32 s52, s47, s49
	s_mov_b64 s[46:47], 0xffffffff
	v_mul_u64_e32 v[20:21], s[52:53], v[16:17]
	s_and_b64 s[46:47], s[0:1], s[46:47]
	v_mul_u64_e32 v[22:23], s[52:53], v[18:19]
	v_mul_u64_e32 v[12:13], s[46:47], v[18:19]
	s_delay_alu instid0(VALU_DEP_3) | instskip(NEXT) | instid1(VALU_DEP_1)
	v_add_nc_u64_e32 v[20:21], v[24:25], v[20:21]
	v_add_co_u32 v1, vcc_lo, v20, v12
	s_delay_alu instid0(VALU_DEP_2) | instskip(SKIP_1) | instid1(VALU_DEP_1)
	v_add_co_ci_u32_e32 v10, vcc_lo, v21, v13, vcc_lo
	v_add_co_ci_u32_e32 v23, vcc_lo, 0, v23, vcc_lo
	v_add_nc_u64_e32 v[10:11], v[10:11], v[22:23]
	s_delay_alu instid0(VALU_DEP_1) | instskip(NEXT) | instid1(VALU_DEP_1)
	v_mul_u64_e32 v[12:13], s[42:43], v[10:11]
	v_sub_nc_u32_e32 v1, v18, v13
	s_delay_alu instid0(VALU_DEP_2) | instskip(NEXT) | instid1(VALU_DEP_1)
	v_sub_co_u32 v3, vcc_lo, v16, v12
	v_sub_co_ci_u32_e64 v9, null, v18, v13, vcc_lo
	s_delay_alu instid0(VALU_DEP_3) | instskip(NEXT) | instid1(VALU_DEP_3)
	v_subrev_co_ci_u32_e64 v1, null, s43, v1, vcc_lo
	v_sub_co_u32 v5, s0, v3, s42
	v_add_nc_u64_e32 v[16:17], 1, v[10:11]
	s_delay_alu instid0(VALU_DEP_3) | instskip(NEXT) | instid1(VALU_DEP_3)
	v_subrev_co_ci_u32_e64 v1, null, 0, v1, s0
	v_cmp_le_u32_e32 vcc_lo, s42, v5
	v_cndmask_b32_e64 v5, 0, -1, vcc_lo
	s_delay_alu instid0(VALU_DEP_3)
	v_cmp_le_u32_e32 vcc_lo, s43, v1
	v_cndmask_b32_e64 v12, 0, -1, vcc_lo
	v_cmp_le_u32_e32 vcc_lo, s42, v3
	v_cndmask_b32_e64 v3, 0, -1, vcc_lo
	;; [unrolled: 2-line block ×3, first 2 shown]
	v_cmp_eq_u32_e32 vcc_lo, s43, v1
	v_cndmask_b32_e32 v1, v12, v5, vcc_lo
	v_cmp_eq_u32_e32 vcc_lo, s43, v9
	v_add_nc_u64_e32 v[12:13], 2, v[10:11]
	v_cndmask_b32_e32 v3, v15, v3, vcc_lo
	s_delay_alu instid0(VALU_DEP_4) | instskip(NEXT) | instid1(VALU_DEP_2)
	v_cmp_ne_u32_e32 vcc_lo, 0, v1
	v_cmp_ne_u32_e64 s0, 0, v3
	s_delay_alu instid0(VALU_DEP_4) | instskip(NEXT) | instid1(VALU_DEP_1)
	v_dual_cndmask_b32 v1, v17, v13, vcc_lo :: v_dual_cndmask_b32 v3, v16, v12, vcc_lo
                                        ; implicit-def: $vgpr12_vgpr13
	v_dual_cndmask_b32 v1, v11, v1, s0 :: v_dual_cndmask_b32 v3, v10, v3, s0
	s_delay_alu instid0(VALU_DEP_1) | instskip(NEXT) | instid1(VALU_DEP_2)
	v_dual_mov_b32 v9, v8 :: v_dual_bitop2_b32 v11, v1, v8 bitop3:0x14
	v_xor_b32_e32 v10, v3, v8
	s_delay_alu instid0(VALU_DEP_1)
	v_sub_nc_u64_e32 v[8:9], v[10:11], v[8:9]
.LBB9_17:
	s_and_not1_saveexec_b32 s0, s44
	s_cbranch_execz .LBB9_19
; %bb.18:
	v_cvt_f32_u32_e32 v1, s12
	s_sub_co_i32 s14, 0, s12
	v_mov_b32_e32 v9, 0
	s_delay_alu instid0(VALU_DEP_2) | instskip(SKIP_1) | instid1(TRANS32_DEP_1)
	v_rcp_iflag_f32_e32 v1, v1
	v_nop
	v_mul_f32_e32 v1, 0x4f7ffffe, v1
	s_delay_alu instid0(VALU_DEP_1) | instskip(NEXT) | instid1(VALU_DEP_1)
	v_cvt_u32_f32_e32 v1, v1
	v_mul_lo_u32 v3, s14, v1
	s_delay_alu instid0(VALU_DEP_1) | instskip(NEXT) | instid1(VALU_DEP_1)
	v_mul_hi_u32 v3, v1, v3
	v_add_nc_u32_e32 v1, v1, v3
	s_delay_alu instid0(VALU_DEP_1) | instskip(NEXT) | instid1(VALU_DEP_1)
	v_mul_hi_u32 v1, v12, v1
	v_mul_lo_u32 v3, v1, s12
	s_delay_alu instid0(VALU_DEP_1) | instskip(NEXT) | instid1(VALU_DEP_1)
	v_sub_nc_u32_e32 v3, v12, v3
	v_subrev_nc_u32_e32 v8, s12, v3
	v_cmp_le_u32_e32 vcc_lo, s12, v3
	s_delay_alu instid0(VALU_DEP_2) | instskip(NEXT) | instid1(VALU_DEP_1)
	v_dual_add_nc_u32 v5, 1, v1 :: v_dual_cndmask_b32 v3, v3, v8, vcc_lo
	v_cndmask_b32_e32 v1, v1, v5, vcc_lo
	s_delay_alu instid0(VALU_DEP_2) | instskip(NEXT) | instid1(VALU_DEP_2)
	v_cmp_le_u32_e32 vcc_lo, s12, v3
	v_add_nc_u32_e32 v5, 1, v1
	s_delay_alu instid0(VALU_DEP_1)
	v_cndmask_b32_e32 v8, v1, v5, vcc_lo
.LBB9_19:
	s_or_b32 exec_lo, exec_lo, s0
.LBB9_20:
	s_delay_alu instid0(SALU_CYCLE_1) | instskip(SKIP_2) | instid1(VALU_DEP_1)
	s_or_b32 exec_lo, exec_lo, s1
	v_dual_mov_b32 v10, 0 :: v_dual_bitop2_b32 v11, s13, v7 bitop3:0x54
                                        ; implicit-def: $vgpr12_vgpr13
	s_mov_b32 s0, exec_lo
	v_cmpx_ne_u64_e32 0, v[10:11]
	s_xor_b32 s1, exec_lo, s0
	s_cbranch_execz .LBB9_22
; %bb.21:
	s_ashr_i32 s14, s13, 31
	s_mov_b32 s51, 0
	s_mov_b32 s15, s14
	v_dual_mov_b32 v19, v10 :: v_dual_ashrrev_i32 v12, 31, v7
	s_add_nc_u64 s[42:43], s[12:13], s[14:15]
	v_mov_b32_e32 v21, v10
	s_xor_b64 s[42:43], s[42:43], s[14:15]
	s_delay_alu instid0(VALU_DEP_2)
	v_mov_b32_e32 v13, v12
	s_cvt_f32_u32 s0, s42
	s_cvt_f32_u32 s15, s43
	s_sub_nc_u64 s[46:47], 0, s[42:43]
	v_mov_b32_e32 v27, v10
	v_add_nc_u64_e32 v[16:17], v[6:7], v[12:13]
	s_fmamk_f32 s0, s15, 0x4f800000, s0
	v_mov_b32_e32 v11, v10
	s_delay_alu instid0(SALU_CYCLE_2) | instskip(NEXT) | instid1(VALU_DEP_2)
	v_s_rcp_f32 s0, s0
	v_xor_b32_e32 v18, v16, v12
	s_delay_alu instid0(VALU_DEP_3) | instskip(SKIP_1) | instid1(TRANS32_DEP_1)
	v_xor_b32_e32 v20, v17, v12
	v_xor_b32_e32 v12, s14, v12
	s_mul_f32 s0, s0, 0x5f7ffffc
	s_delay_alu instid0(SALU_CYCLE_3) | instskip(NEXT) | instid1(SALU_CYCLE_3)
	s_mul_f32 s15, s0, 0x2f800000
	s_trunc_f32 s15, s15
	s_delay_alu instid0(SALU_CYCLE_3) | instskip(SKIP_1) | instid1(SALU_CYCLE_2)
	s_fmamk_f32 s0, s15, 0xcf800000, s0
	s_cvt_u32_f32 s45, s15
	s_cvt_u32_f32 s44, s0
	s_delay_alu instid0(SALU_CYCLE_3) | instskip(NEXT) | instid1(SALU_CYCLE_1)
	s_mul_u64 s[48:49], s[46:47], s[44:45]
	s_mul_hi_u32 s53, s44, s49
	s_mul_i32 s52, s44, s49
	s_mul_hi_u32 s50, s44, s48
	s_mul_i32 s15, s45, s48
	s_add_nc_u64 s[52:53], s[50:51], s[52:53]
	s_mul_hi_u32 s0, s45, s48
	s_mul_hi_u32 s54, s45, s49
	s_add_co_u32 s15, s52, s15
	s_add_co_ci_u32 s50, s53, s0
	s_mul_i32 s48, s45, s49
	s_add_co_ci_u32 s49, s54, 0
	s_delay_alu instid0(SALU_CYCLE_1) | instskip(NEXT) | instid1(SALU_CYCLE_1)
	s_add_nc_u64 s[48:49], s[50:51], s[48:49]
	s_add_co_u32 s44, s44, s48
	s_cselect_b32 s0, -1, 0
	s_delay_alu instid0(SALU_CYCLE_1) | instskip(SKIP_1) | instid1(SALU_CYCLE_1)
	s_cmp_lg_u32 s0, 0
	s_add_co_ci_u32 s45, s45, s49
	s_mul_u64 s[46:47], s[46:47], s[44:45]
	s_delay_alu instid0(SALU_CYCLE_1)
	s_mul_hi_u32 s49, s44, s47
	s_mul_i32 s48, s44, s47
	s_mul_hi_u32 s50, s44, s46
	s_mul_i32 s15, s45, s46
	s_add_nc_u64 s[48:49], s[50:51], s[48:49]
	s_mul_hi_u32 s0, s45, s46
	s_mul_hi_u32 s52, s45, s47
	s_add_co_u32 s15, s48, s15
	s_add_co_ci_u32 s50, s49, s0
	s_mul_i32 s46, s45, s47
	s_add_co_ci_u32 s47, s52, 0
	s_delay_alu instid0(SALU_CYCLE_1) | instskip(NEXT) | instid1(SALU_CYCLE_1)
	s_add_nc_u64 s[46:47], s[50:51], s[46:47]
	s_add_co_u32 s0, s44, s46
	s_cselect_b32 s15, -1, 0
	v_mul_hi_u32 v26, v18, s0
	s_cmp_lg_u32 s15, 0
	s_add_co_ci_u32 s50, s45, s47
	s_mov_b64 s[44:45], 0xffffffff
	v_mul_u64_e32 v[22:23], s[50:51], v[18:19]
	s_and_b64 s[44:45], s[0:1], s[44:45]
	v_mul_u64_e32 v[24:25], s[50:51], v[20:21]
	v_mul_u64_e32 v[16:17], s[44:45], v[20:21]
	s_delay_alu instid0(VALU_DEP_3) | instskip(NEXT) | instid1(VALU_DEP_1)
	v_add_nc_u64_e32 v[22:23], v[26:27], v[22:23]
	v_add_co_u32 v1, vcc_lo, v22, v16
	s_delay_alu instid0(VALU_DEP_2) | instskip(SKIP_1) | instid1(VALU_DEP_1)
	v_add_co_ci_u32_e32 v10, vcc_lo, v23, v17, vcc_lo
	v_add_co_ci_u32_e32 v25, vcc_lo, 0, v25, vcc_lo
	v_add_nc_u64_e32 v[10:11], v[10:11], v[24:25]
	s_delay_alu instid0(VALU_DEP_1) | instskip(NEXT) | instid1(VALU_DEP_1)
	v_mul_u64_e32 v[16:17], s[42:43], v[10:11]
	v_sub_nc_u32_e32 v1, v20, v17
	s_delay_alu instid0(VALU_DEP_2) | instskip(NEXT) | instid1(VALU_DEP_1)
	v_sub_co_u32 v3, vcc_lo, v18, v16
	v_sub_co_ci_u32_e64 v13, null, v20, v17, vcc_lo
	s_delay_alu instid0(VALU_DEP_3) | instskip(NEXT) | instid1(VALU_DEP_3)
	v_subrev_co_ci_u32_e64 v1, null, s43, v1, vcc_lo
	v_sub_co_u32 v5, s0, v3, s42
	v_add_nc_u64_e32 v[16:17], 2, v[10:11]
	s_delay_alu instid0(VALU_DEP_3) | instskip(NEXT) | instid1(VALU_DEP_3)
	v_subrev_co_ci_u32_e64 v1, null, 0, v1, s0
	v_cmp_le_u32_e32 vcc_lo, s42, v5
	v_add_nc_u64_e32 v[18:19], 1, v[10:11]
	v_cndmask_b32_e64 v5, 0, -1, vcc_lo
	s_delay_alu instid0(VALU_DEP_4)
	v_cmp_le_u32_e32 vcc_lo, s43, v1
	v_cndmask_b32_e64 v15, 0, -1, vcc_lo
	v_cmp_le_u32_e32 vcc_lo, s42, v3
	v_cndmask_b32_e64 v3, 0, -1, vcc_lo
	;; [unrolled: 2-line block ×3, first 2 shown]
	v_cmp_eq_u32_e32 vcc_lo, s43, v1
	v_cndmask_b32_e32 v1, v15, v5, vcc_lo
	v_cmp_eq_u32_e32 vcc_lo, s43, v13
	s_delay_alu instid0(VALU_DEP_4) | instskip(NEXT) | instid1(VALU_DEP_3)
	v_cndmask_b32_e32 v3, v20, v3, vcc_lo
	v_cmp_ne_u32_e32 vcc_lo, 0, v1
	s_delay_alu instid0(VALU_DEP_2) | instskip(SKIP_1) | instid1(VALU_DEP_1)
	v_cmp_ne_u32_e64 s0, 0, v3
	v_dual_cndmask_b32 v1, v19, v17, vcc_lo :: v_dual_cndmask_b32 v3, v18, v16, vcc_lo
	v_dual_cndmask_b32 v1, v11, v1, s0 :: v_dual_cndmask_b32 v3, v10, v3, s0
	s_delay_alu instid0(VALU_DEP_1) | instskip(NEXT) | instid1(VALU_DEP_2)
	v_dual_mov_b32 v13, v12 :: v_dual_bitop2_b32 v11, v1, v12 bitop3:0x14
	v_xor_b32_e32 v10, v3, v12
	s_delay_alu instid0(VALU_DEP_1)
	v_sub_nc_u64_e32 v[12:13], v[10:11], v[12:13]
.LBB9_22:
	s_and_not1_saveexec_b32 s0, s1
	s_cbranch_execz .LBB9_24
; %bb.23:
	v_cvt_f32_u32_e32 v1, s12
	s_sub_co_i32 s1, 0, s12
	v_mov_b32_e32 v13, 0
	s_delay_alu instid0(VALU_DEP_2) | instskip(SKIP_1) | instid1(TRANS32_DEP_1)
	v_rcp_iflag_f32_e32 v1, v1
	v_nop
	v_mul_f32_e32 v1, 0x4f7ffffe, v1
	s_delay_alu instid0(VALU_DEP_1) | instskip(NEXT) | instid1(VALU_DEP_1)
	v_cvt_u32_f32_e32 v1, v1
	v_mul_lo_u32 v3, s1, v1
	s_delay_alu instid0(VALU_DEP_1) | instskip(NEXT) | instid1(VALU_DEP_1)
	v_mul_hi_u32 v3, v1, v3
	v_add_nc_u32_e32 v1, v1, v3
	s_delay_alu instid0(VALU_DEP_1) | instskip(NEXT) | instid1(VALU_DEP_1)
	v_mul_hi_u32 v1, v6, v1
	v_mul_lo_u32 v3, v1, s12
	s_delay_alu instid0(VALU_DEP_1) | instskip(NEXT) | instid1(VALU_DEP_1)
	v_sub_nc_u32_e32 v3, v6, v3
	v_subrev_nc_u32_e32 v10, s12, v3
	v_cmp_le_u32_e32 vcc_lo, s12, v3
	s_delay_alu instid0(VALU_DEP_2) | instskip(NEXT) | instid1(VALU_DEP_1)
	v_dual_add_nc_u32 v5, 1, v1 :: v_dual_cndmask_b32 v3, v3, v10, vcc_lo
	v_cndmask_b32_e32 v1, v1, v5, vcc_lo
	s_delay_alu instid0(VALU_DEP_2) | instskip(NEXT) | instid1(VALU_DEP_2)
	v_cmp_le_u32_e32 vcc_lo, s12, v3
	v_add_nc_u32_e32 v5, 1, v1
	s_delay_alu instid0(VALU_DEP_1)
	v_cndmask_b32_e32 v12, v1, v5, vcc_lo
.LBB9_24:
	s_or_b32 exec_lo, exec_lo, s0
	v_mul_u64_e32 v[16:17], s[12:13], v[8:9]
	s_delay_alu instid0(VALU_DEP_2) | instskip(SKIP_2) | instid1(VALU_DEP_2)
	v_min_i64 v[10:11], v[12:13], s[2:3]
	s_mov_b32 s14, 0
	s_mov_b32 s15, exec_lo
	v_add_nc_u64_e32 v[12:13], s[10:11], v[16:17]
	v_cmp_gt_i64_e32 vcc_lo, v[16:17], v[6:7]
	s_delay_alu instid0(VALU_DEP_2) | instskip(SKIP_2) | instid1(SALU_CYCLE_1)
	v_cmp_ge_i64_e64 s0, v[6:7], v[12:13]
	v_mov_b32_e32 v13, s14
	s_or_b32 s0, vcc_lo, s0
	v_cndmask_b32_e64 v12, 0, 1, s0
	s_delay_alu instid0(VALU_DEP_1) | instskip(NEXT) | instid1(VALU_DEP_1)
	v_add_nc_u64_e32 v[8:9], v[8:9], v[12:13]
	v_cmpx_le_i64_e64 v[8:9], v[10:11]
	s_cbranch_execz .LBB9_27
; %bb.25:
	global_load_u16 v1, v2, s[4:5]
	v_mul_u64_e32 v[12:13], s[12:13], v[8:9]
	v_mov_b32_e32 v3, 0
	s_mul_u64 s[0:1], s[12:13], s[18:19]
	s_lshl_b64 s[42:43], s[16:17], 1
	s_lshl_b64 s[0:1], s[0:1], 1
	s_delay_alu instid0(VALU_DEP_1) | instskip(SKIP_3) | instid1(VALU_DEP_4)
	v_mov_b32_e32 v5, v3
	s_wait_xcnt 0x0
	v_add_nc_u64_e32 v[2:3], s[4:5], v[2:3]
	s_sub_nc_u64 s[0:1], s[42:43], s[0:1]
	v_sub_nc_u64_e32 v[6:7], v[6:7], v[12:13]
	v_mul_u64_e32 v[12:13], s[16:17], v[8:9]
	s_delay_alu instid0(VALU_DEP_2) | instskip(NEXT) | instid1(VALU_DEP_2)
	v_mul_u64_e32 v[6:7], s[18:19], v[6:7]
	v_lshlrev_b64_e32 v[12:13], 1, v[12:13]
	s_delay_alu instid0(VALU_DEP_1) | instskip(NEXT) | instid1(VALU_DEP_1)
	v_lshl_add_u64 v[6:7], v[6:7], 1, v[12:13]
	v_add_nc_u64_e32 v[6:7], v[6:7], v[4:5]
	v_add_nc_u64_e32 v[4:5], -1, v[8:9]
	s_delay_alu instid0(VALU_DEP_2)
	v_add_nc_u64_e32 v[6:7], s[6:7], v[6:7]
.LBB9_26:                               ; =>This Inner Loop Header: Depth=1
	global_load_u16 v8, v[6:7], off
	v_add_nc_u64_e32 v[4:5], 1, v[4:5]
	s_wait_xcnt 0x0
	v_add_nc_u64_e32 v[6:7], s[0:1], v[6:7]
	s_delay_alu instid0(VALU_DEP_2)
	v_cmp_ge_i64_e32 vcc_lo, v[4:5], v[10:11]
	s_or_b32 s14, vcc_lo, s14
	s_wait_loadcnt 0x0
	v_add_f16_e32 v1, v1, v8
	global_store_b16 v[2:3], v1, off
	s_wait_xcnt 0x0
	s_and_not1_b32 exec_lo, exec_lo, s14
	s_cbranch_execnz .LBB9_26
.LBB9_27:
	s_or_b32 exec_lo, exec_lo, s15
	v_add_nc_u32_e32 v0, 0x100, v0
	s_or_b32 exec_lo, exec_lo, s29
	s_delay_alu instid0(SALU_CYCLE_1) | instskip(NEXT) | instid1(VALU_DEP_1)
	s_mov_b32 s29, exec_lo
	v_cmpx_gt_i32_e64 s31, v0
	s_cbranch_execz .LBB9_2
.LBB9_28:
	v_cmp_ne_u32_e32 vcc_lo, 1, v14
	s_cbranch_vccnz .LBB9_35
; %bb.29:
	v_dual_mov_b32 v3, 0 :: v_dual_mov_b32 v4, 0
	v_mov_b32_e32 v2, 0
	s_and_not1_b32 vcc_lo, exec_lo, s33
	s_cbranch_vccnz .LBB9_34
; %bb.30:
	v_dual_mov_b32 v2, 0 :: v_dual_mov_b32 v1, v0
	v_dual_mov_b32 v4, 0 :: v_dual_mov_b32 v3, 0
	s_add_co_i32 s14, s22, 1
	s_mov_b64 s[0:1], 0xffffffffffffffe8
	s_and_b32 s14, s14, 30
	s_add_nc_u64 s[0:1], s[40:41], s[0:1]
.LBB9_31:                               ; =>This Inner Loop Header: Depth=1
	s_clause 0x1
	s_load_b128 s[44:47], s[0:1], 0x1c
	s_load_b64 s[42:43], s[0:1], 0x2c
	s_add_co_i32 s14, s14, -2
	s_delay_alu instid0(SALU_CYCLE_1) | instskip(SKIP_2) | instid1(VALU_DEP_1)
	s_cmp_eq_u32 s14, 0
	s_wait_kmcnt 0x0
	v_mul_hi_u32 v5, s45, v1
	v_add_nc_u32_e32 v5, v1, v5
	s_delay_alu instid0(VALU_DEP_1) | instskip(NEXT) | instid1(VALU_DEP_1)
	v_lshrrev_b32_e32 v5, s46, v5
	v_mul_hi_u32 v6, s42, v5
	v_mul_lo_u32 v7, v5, s44
	s_clause 0x1
	s_load_b128 s[48:51], s[0:1], 0xdc
	s_load_b64 s[44:45], s[0:1], 0xec
	s_wait_xcnt 0x0
	s_add_nc_u64 s[0:1], s[0:1], 24
	s_delay_alu instid0(VALU_DEP_2) | instskip(NEXT) | instid1(VALU_DEP_1)
	v_add_nc_u32_e32 v6, v5, v6
	v_dual_sub_nc_u32 v7, v1, v7 :: v_dual_lshrrev_b32 v1, s43, v6
	s_wait_kmcnt 0x0
	s_delay_alu instid0(VALU_DEP_1) | instskip(NEXT) | instid1(VALU_DEP_2)
	v_mad_u32 v2, v7, s48, v2
	v_mul_lo_u32 v6, v1, s47
	v_mad_u32 v3, v7, s50, v3
	v_mad_u32 v4, v7, s49, v4
	s_delay_alu instid0(VALU_DEP_3) | instskip(NEXT) | instid1(VALU_DEP_1)
	v_sub_nc_u32_e32 v5, v5, v6
	v_mad_u32 v2, v5, s51, v2
	s_delay_alu instid0(VALU_DEP_4) | instskip(NEXT) | instid1(VALU_DEP_4)
	v_mad_u32 v3, v5, s45, v3
	v_mad_u32 v4, v5, s44, v4
	s_cbranch_scc0 .LBB9_31
; %bb.32:
	s_bitcmp1_b32 s22, 0
	s_cselect_b32 s14, -1, 0
	s_delay_alu instid0(SALU_CYCLE_1)
	s_and_b32 vcc_lo, exec_lo, s14
	s_cbranch_vccnz .LBB9_34
; %bb.33:
	s_clause 0x1
	s_load_b96 s[44:46], s[0:1], 0x1c
	s_load_b96 s[48:50], s[0:1], 0xdc
	s_wait_kmcnt 0x0
	v_mul_hi_u32 v5, s45, v1
	s_delay_alu instid0(VALU_DEP_1) | instskip(NEXT) | instid1(VALU_DEP_1)
	v_add_nc_u32_e32 v5, v1, v5
	v_lshrrev_b32_e32 v5, s46, v5
	s_delay_alu instid0(VALU_DEP_1) | instskip(NEXT) | instid1(VALU_DEP_1)
	v_mul_lo_u32 v5, v5, s44
	v_sub_nc_u32_e32 v1, v1, v5
	s_delay_alu instid0(VALU_DEP_1)
	v_mad_u32 v2, v1, s48, v2
	v_mad_u32 v4, v1, s49, v4
	v_mad_u32 v3, v1, s50, v3
.LBB9_34:
	s_cbranch_execz .LBB9_36
	s_branch .LBB9_38
.LBB9_35:
                                        ; implicit-def: $vgpr3
                                        ; implicit-def: $vgpr4
                                        ; implicit-def: $vgpr2
.LBB9_36:
	v_mov_b32_e32 v1, 0
	s_and_not1_b32 vcc_lo, exec_lo, s20
	s_delay_alu instid0(VALU_DEP_1) | instskip(NEXT) | instid1(VALU_DEP_1)
	v_mul_u64_e32 v[2:3], s[36:37], v[0:1]
	v_add_nc_u32_e32 v2, v0, v3
	s_delay_alu instid0(VALU_DEP_1) | instskip(NEXT) | instid1(VALU_DEP_1)
	v_lshrrev_b32_e32 v6, s23, v2
	v_mul_lo_u32 v2, v6, s21
	s_delay_alu instid0(VALU_DEP_1) | instskip(NEXT) | instid1(VALU_DEP_1)
	v_sub_nc_u32_e32 v4, v0, v2
	v_mul_lo_u32 v2, v4, s24
	v_mul_lo_u32 v3, v4, s26
	;; [unrolled: 1-line block ×3, first 2 shown]
	s_cbranch_vccnz .LBB9_38
; %bb.37:
	v_mov_b32_e32 v7, v1
	s_delay_alu instid0(VALU_DEP_1) | instskip(NEXT) | instid1(VALU_DEP_1)
	v_mul_u64_e32 v[8:9], s[38:39], v[6:7]
	v_add_nc_u32_e32 v1, v6, v9
	s_delay_alu instid0(VALU_DEP_1) | instskip(NEXT) | instid1(VALU_DEP_1)
	v_lshrrev_b32_e32 v1, s30, v1
	v_mul_lo_u32 v1, v1, s28
	s_delay_alu instid0(VALU_DEP_1) | instskip(NEXT) | instid1(VALU_DEP_1)
	v_sub_nc_u32_e32 v1, v6, v1
	v_mad_u32 v2, v1, s27, v2
	v_mad_u32 v4, v1, s34, v4
	;; [unrolled: 1-line block ×3, first 2 shown]
.LBB9_38:
	global_load_b64 v[6:7], v3, s[8:9]
	v_mov_b64_e32 v[8:9], 0
	s_mov_b32 s1, exec_lo
	s_wait_loadcnt 0x0
	v_cmpx_lt_i64_e64 s[10:11], v[6:7]
	s_cbranch_execz .LBB9_44
; %bb.39:
	v_sub_nc_u64_e64 v[12:13], v[6:7], s[10:11]
                                        ; implicit-def: $vgpr8_vgpr9
	s_mov_b32 s0, exec_lo
	s_delay_alu instid0(VALU_DEP_1) | instskip(NEXT) | instid1(VALU_DEP_1)
	v_dual_mov_b32 v10, 0 :: v_dual_bitop2_b32 v11, s13, v13 bitop3:0x54
	v_cmpx_ne_u64_e32 0, v[10:11]
	s_xor_b32 s44, exec_lo, s0
	s_cbranch_execz .LBB9_41
; %bb.40:
	s_ashr_i32 s14, s13, 31
	s_mov_b32 s53, 0
	s_mov_b32 s15, s14
	v_dual_mov_b32 v17, v10 :: v_dual_ashrrev_i32 v8, 31, v13
	s_add_nc_u64 s[42:43], s[12:13], s[14:15]
	v_mov_b32_e32 v19, v10
	s_xor_b64 s[42:43], s[42:43], s[14:15]
	s_delay_alu instid0(VALU_DEP_2)
	v_mov_b32_e32 v9, v8
	s_cvt_f32_u32 s0, s42
	s_cvt_f32_u32 s15, s43
	s_sub_nc_u64 s[48:49], 0, s[42:43]
	v_mov_b32_e32 v25, v10
	v_add_nc_u64_e32 v[12:13], v[12:13], v[8:9]
	s_fmamk_f32 s0, s15, 0x4f800000, s0
	v_mov_b32_e32 v11, v10
	s_delay_alu instid0(SALU_CYCLE_2) | instskip(NEXT) | instid1(VALU_DEP_2)
	v_s_rcp_f32 s0, s0
	v_xor_b32_e32 v16, v12, v8
	s_delay_alu instid0(VALU_DEP_3) | instskip(SKIP_1) | instid1(TRANS32_DEP_1)
	v_xor_b32_e32 v18, v13, v8
	v_xor_b32_e32 v8, s14, v8
	s_mul_f32 s0, s0, 0x5f7ffffc
	s_delay_alu instid0(SALU_CYCLE_3) | instskip(NEXT) | instid1(SALU_CYCLE_3)
	s_mul_f32 s15, s0, 0x2f800000
	s_trunc_f32 s15, s15
	s_delay_alu instid0(SALU_CYCLE_3) | instskip(SKIP_1) | instid1(SALU_CYCLE_2)
	s_fmamk_f32 s0, s15, 0xcf800000, s0
	s_cvt_u32_f32 s47, s15
	s_cvt_u32_f32 s46, s0
	s_delay_alu instid0(SALU_CYCLE_3) | instskip(NEXT) | instid1(SALU_CYCLE_1)
	s_mul_u64 s[50:51], s[48:49], s[46:47]
	s_mul_hi_u32 s55, s46, s51
	s_mul_i32 s54, s46, s51
	s_mul_hi_u32 s52, s46, s50
	s_mul_i32 s15, s47, s50
	s_add_nc_u64 s[54:55], s[52:53], s[54:55]
	s_mul_hi_u32 s0, s47, s50
	s_mul_hi_u32 s45, s47, s51
	s_add_co_u32 s15, s54, s15
	s_add_co_ci_u32 s52, s55, s0
	s_mul_i32 s50, s47, s51
	s_add_co_ci_u32 s51, s45, 0
	s_delay_alu instid0(SALU_CYCLE_1) | instskip(NEXT) | instid1(SALU_CYCLE_1)
	s_add_nc_u64 s[50:51], s[52:53], s[50:51]
	s_add_co_u32 s46, s46, s50
	s_cselect_b32 s0, -1, 0
	s_delay_alu instid0(SALU_CYCLE_1) | instskip(SKIP_1) | instid1(SALU_CYCLE_1)
	s_cmp_lg_u32 s0, 0
	s_add_co_ci_u32 s47, s47, s51
	s_mul_u64 s[48:49], s[48:49], s[46:47]
	s_delay_alu instid0(SALU_CYCLE_1)
	s_mul_hi_u32 s51, s46, s49
	s_mul_i32 s50, s46, s49
	s_mul_hi_u32 s52, s46, s48
	s_mul_i32 s15, s47, s48
	s_add_nc_u64 s[50:51], s[52:53], s[50:51]
	s_mul_hi_u32 s0, s47, s48
	s_mul_hi_u32 s45, s47, s49
	s_add_co_u32 s15, s50, s15
	s_add_co_ci_u32 s52, s51, s0
	s_mul_i32 s48, s47, s49
	s_add_co_ci_u32 s49, s45, 0
	s_delay_alu instid0(SALU_CYCLE_1) | instskip(NEXT) | instid1(SALU_CYCLE_1)
	s_add_nc_u64 s[48:49], s[52:53], s[48:49]
	s_add_co_u32 s0, s46, s48
	s_cselect_b32 s15, -1, 0
	v_mul_hi_u32 v24, v16, s0
	s_cmp_lg_u32 s15, 0
	s_add_co_ci_u32 s52, s47, s49
	s_mov_b64 s[46:47], 0xffffffff
	v_mul_u64_e32 v[20:21], s[52:53], v[16:17]
	s_and_b64 s[46:47], s[0:1], s[46:47]
	v_mul_u64_e32 v[22:23], s[52:53], v[18:19]
	v_mul_u64_e32 v[12:13], s[46:47], v[18:19]
	s_delay_alu instid0(VALU_DEP_3) | instskip(NEXT) | instid1(VALU_DEP_1)
	v_add_nc_u64_e32 v[20:21], v[24:25], v[20:21]
	v_add_co_u32 v1, vcc_lo, v20, v12
	s_delay_alu instid0(VALU_DEP_2) | instskip(SKIP_1) | instid1(VALU_DEP_1)
	v_add_co_ci_u32_e32 v10, vcc_lo, v21, v13, vcc_lo
	v_add_co_ci_u32_e32 v23, vcc_lo, 0, v23, vcc_lo
	v_add_nc_u64_e32 v[10:11], v[10:11], v[22:23]
	s_delay_alu instid0(VALU_DEP_1) | instskip(NEXT) | instid1(VALU_DEP_1)
	v_mul_u64_e32 v[12:13], s[42:43], v[10:11]
	v_sub_nc_u32_e32 v1, v18, v13
	s_delay_alu instid0(VALU_DEP_2) | instskip(NEXT) | instid1(VALU_DEP_1)
	v_sub_co_u32 v3, vcc_lo, v16, v12
	v_sub_co_ci_u32_e64 v9, null, v18, v13, vcc_lo
	s_delay_alu instid0(VALU_DEP_3) | instskip(NEXT) | instid1(VALU_DEP_3)
	v_subrev_co_ci_u32_e64 v1, null, s43, v1, vcc_lo
	v_sub_co_u32 v5, s0, v3, s42
	v_add_nc_u64_e32 v[16:17], 1, v[10:11]
	s_delay_alu instid0(VALU_DEP_3) | instskip(NEXT) | instid1(VALU_DEP_3)
	v_subrev_co_ci_u32_e64 v1, null, 0, v1, s0
	v_cmp_le_u32_e32 vcc_lo, s42, v5
	v_cndmask_b32_e64 v5, 0, -1, vcc_lo
	s_delay_alu instid0(VALU_DEP_3)
	v_cmp_le_u32_e32 vcc_lo, s43, v1
	v_cndmask_b32_e64 v12, 0, -1, vcc_lo
	v_cmp_le_u32_e32 vcc_lo, s42, v3
	v_cndmask_b32_e64 v3, 0, -1, vcc_lo
	;; [unrolled: 2-line block ×3, first 2 shown]
	v_cmp_eq_u32_e32 vcc_lo, s43, v1
	v_cndmask_b32_e32 v1, v12, v5, vcc_lo
	v_cmp_eq_u32_e32 vcc_lo, s43, v9
	v_add_nc_u64_e32 v[12:13], 2, v[10:11]
	v_cndmask_b32_e32 v3, v15, v3, vcc_lo
	s_delay_alu instid0(VALU_DEP_4) | instskip(NEXT) | instid1(VALU_DEP_2)
	v_cmp_ne_u32_e32 vcc_lo, 0, v1
	v_cmp_ne_u32_e64 s0, 0, v3
	s_delay_alu instid0(VALU_DEP_4) | instskip(NEXT) | instid1(VALU_DEP_1)
	v_dual_cndmask_b32 v1, v17, v13, vcc_lo :: v_dual_cndmask_b32 v3, v16, v12, vcc_lo
                                        ; implicit-def: $vgpr12_vgpr13
	v_dual_cndmask_b32 v1, v11, v1, s0 :: v_dual_cndmask_b32 v3, v10, v3, s0
	s_delay_alu instid0(VALU_DEP_1) | instskip(NEXT) | instid1(VALU_DEP_2)
	v_dual_mov_b32 v9, v8 :: v_dual_bitop2_b32 v11, v1, v8 bitop3:0x14
	v_xor_b32_e32 v10, v3, v8
	s_delay_alu instid0(VALU_DEP_1)
	v_sub_nc_u64_e32 v[8:9], v[10:11], v[8:9]
.LBB9_41:
	s_and_not1_saveexec_b32 s0, s44
	s_cbranch_execz .LBB9_43
; %bb.42:
	v_cvt_f32_u32_e32 v1, s12
	s_sub_co_i32 s14, 0, s12
	v_mov_b32_e32 v9, 0
	s_delay_alu instid0(VALU_DEP_2) | instskip(SKIP_1) | instid1(TRANS32_DEP_1)
	v_rcp_iflag_f32_e32 v1, v1
	v_nop
	v_mul_f32_e32 v1, 0x4f7ffffe, v1
	s_delay_alu instid0(VALU_DEP_1) | instskip(NEXT) | instid1(VALU_DEP_1)
	v_cvt_u32_f32_e32 v1, v1
	v_mul_lo_u32 v3, s14, v1
	s_delay_alu instid0(VALU_DEP_1) | instskip(NEXT) | instid1(VALU_DEP_1)
	v_mul_hi_u32 v3, v1, v3
	v_add_nc_u32_e32 v1, v1, v3
	s_delay_alu instid0(VALU_DEP_1) | instskip(NEXT) | instid1(VALU_DEP_1)
	v_mul_hi_u32 v1, v12, v1
	v_mul_lo_u32 v3, v1, s12
	s_delay_alu instid0(VALU_DEP_1) | instskip(NEXT) | instid1(VALU_DEP_1)
	v_sub_nc_u32_e32 v3, v12, v3
	v_subrev_nc_u32_e32 v8, s12, v3
	v_cmp_le_u32_e32 vcc_lo, s12, v3
	s_delay_alu instid0(VALU_DEP_2) | instskip(NEXT) | instid1(VALU_DEP_1)
	v_dual_add_nc_u32 v5, 1, v1 :: v_dual_cndmask_b32 v3, v3, v8, vcc_lo
	v_cndmask_b32_e32 v1, v1, v5, vcc_lo
	s_delay_alu instid0(VALU_DEP_2) | instskip(NEXT) | instid1(VALU_DEP_2)
	v_cmp_le_u32_e32 vcc_lo, s12, v3
	v_add_nc_u32_e32 v5, 1, v1
	s_delay_alu instid0(VALU_DEP_1)
	v_cndmask_b32_e32 v8, v1, v5, vcc_lo
.LBB9_43:
	s_or_b32 exec_lo, exec_lo, s0
.LBB9_44:
	s_delay_alu instid0(SALU_CYCLE_1) | instskip(SKIP_2) | instid1(VALU_DEP_1)
	s_or_b32 exec_lo, exec_lo, s1
	v_dual_mov_b32 v10, 0 :: v_dual_bitop2_b32 v11, s13, v7 bitop3:0x54
                                        ; implicit-def: $vgpr12_vgpr13
	s_mov_b32 s0, exec_lo
	v_cmpx_ne_u64_e32 0, v[10:11]
	s_xor_b32 s1, exec_lo, s0
	s_cbranch_execz .LBB9_46
; %bb.45:
	s_ashr_i32 s14, s13, 31
	s_mov_b32 s51, 0
	s_mov_b32 s15, s14
	v_dual_mov_b32 v19, v10 :: v_dual_ashrrev_i32 v12, 31, v7
	s_add_nc_u64 s[42:43], s[12:13], s[14:15]
	v_mov_b32_e32 v21, v10
	s_xor_b64 s[42:43], s[42:43], s[14:15]
	s_delay_alu instid0(VALU_DEP_2)
	v_mov_b32_e32 v13, v12
	s_cvt_f32_u32 s0, s42
	s_cvt_f32_u32 s15, s43
	s_sub_nc_u64 s[46:47], 0, s[42:43]
	v_mov_b32_e32 v27, v10
	v_add_nc_u64_e32 v[16:17], v[6:7], v[12:13]
	s_fmamk_f32 s0, s15, 0x4f800000, s0
	v_mov_b32_e32 v11, v10
	s_delay_alu instid0(SALU_CYCLE_2) | instskip(NEXT) | instid1(VALU_DEP_2)
	v_s_rcp_f32 s0, s0
	v_xor_b32_e32 v18, v16, v12
	s_delay_alu instid0(VALU_DEP_3) | instskip(SKIP_1) | instid1(TRANS32_DEP_1)
	v_xor_b32_e32 v20, v17, v12
	v_xor_b32_e32 v12, s14, v12
	s_mul_f32 s0, s0, 0x5f7ffffc
	s_delay_alu instid0(SALU_CYCLE_3) | instskip(NEXT) | instid1(SALU_CYCLE_3)
	s_mul_f32 s15, s0, 0x2f800000
	s_trunc_f32 s15, s15
	s_delay_alu instid0(SALU_CYCLE_3) | instskip(SKIP_1) | instid1(SALU_CYCLE_2)
	s_fmamk_f32 s0, s15, 0xcf800000, s0
	s_cvt_u32_f32 s45, s15
	s_cvt_u32_f32 s44, s0
	s_delay_alu instid0(SALU_CYCLE_3) | instskip(NEXT) | instid1(SALU_CYCLE_1)
	s_mul_u64 s[48:49], s[46:47], s[44:45]
	s_mul_hi_u32 s53, s44, s49
	s_mul_i32 s52, s44, s49
	s_mul_hi_u32 s50, s44, s48
	s_mul_i32 s15, s45, s48
	s_add_nc_u64 s[52:53], s[50:51], s[52:53]
	s_mul_hi_u32 s0, s45, s48
	s_mul_hi_u32 s54, s45, s49
	s_add_co_u32 s15, s52, s15
	s_add_co_ci_u32 s50, s53, s0
	s_mul_i32 s48, s45, s49
	s_add_co_ci_u32 s49, s54, 0
	s_delay_alu instid0(SALU_CYCLE_1) | instskip(NEXT) | instid1(SALU_CYCLE_1)
	s_add_nc_u64 s[48:49], s[50:51], s[48:49]
	s_add_co_u32 s44, s44, s48
	s_cselect_b32 s0, -1, 0
	s_delay_alu instid0(SALU_CYCLE_1) | instskip(SKIP_1) | instid1(SALU_CYCLE_1)
	s_cmp_lg_u32 s0, 0
	s_add_co_ci_u32 s45, s45, s49
	s_mul_u64 s[46:47], s[46:47], s[44:45]
	s_delay_alu instid0(SALU_CYCLE_1)
	s_mul_hi_u32 s49, s44, s47
	s_mul_i32 s48, s44, s47
	s_mul_hi_u32 s50, s44, s46
	s_mul_i32 s15, s45, s46
	s_add_nc_u64 s[48:49], s[50:51], s[48:49]
	s_mul_hi_u32 s0, s45, s46
	s_mul_hi_u32 s52, s45, s47
	s_add_co_u32 s15, s48, s15
	s_add_co_ci_u32 s50, s49, s0
	s_mul_i32 s46, s45, s47
	s_add_co_ci_u32 s47, s52, 0
	s_delay_alu instid0(SALU_CYCLE_1) | instskip(NEXT) | instid1(SALU_CYCLE_1)
	s_add_nc_u64 s[46:47], s[50:51], s[46:47]
	s_add_co_u32 s0, s44, s46
	s_cselect_b32 s15, -1, 0
	v_mul_hi_u32 v26, v18, s0
	s_cmp_lg_u32 s15, 0
	s_add_co_ci_u32 s50, s45, s47
	s_mov_b64 s[44:45], 0xffffffff
	v_mul_u64_e32 v[22:23], s[50:51], v[18:19]
	s_and_b64 s[44:45], s[0:1], s[44:45]
	v_mul_u64_e32 v[24:25], s[50:51], v[20:21]
	v_mul_u64_e32 v[16:17], s[44:45], v[20:21]
	s_delay_alu instid0(VALU_DEP_3) | instskip(NEXT) | instid1(VALU_DEP_1)
	v_add_nc_u64_e32 v[22:23], v[26:27], v[22:23]
	v_add_co_u32 v1, vcc_lo, v22, v16
	s_delay_alu instid0(VALU_DEP_2) | instskip(SKIP_1) | instid1(VALU_DEP_1)
	v_add_co_ci_u32_e32 v10, vcc_lo, v23, v17, vcc_lo
	v_add_co_ci_u32_e32 v25, vcc_lo, 0, v25, vcc_lo
	v_add_nc_u64_e32 v[10:11], v[10:11], v[24:25]
	s_delay_alu instid0(VALU_DEP_1) | instskip(NEXT) | instid1(VALU_DEP_1)
	v_mul_u64_e32 v[16:17], s[42:43], v[10:11]
	v_sub_nc_u32_e32 v1, v20, v17
	s_delay_alu instid0(VALU_DEP_2) | instskip(NEXT) | instid1(VALU_DEP_1)
	v_sub_co_u32 v3, vcc_lo, v18, v16
	v_sub_co_ci_u32_e64 v13, null, v20, v17, vcc_lo
	s_delay_alu instid0(VALU_DEP_3) | instskip(NEXT) | instid1(VALU_DEP_3)
	v_subrev_co_ci_u32_e64 v1, null, s43, v1, vcc_lo
	v_sub_co_u32 v5, s0, v3, s42
	v_add_nc_u64_e32 v[16:17], 2, v[10:11]
	s_delay_alu instid0(VALU_DEP_3) | instskip(NEXT) | instid1(VALU_DEP_3)
	v_subrev_co_ci_u32_e64 v1, null, 0, v1, s0
	v_cmp_le_u32_e32 vcc_lo, s42, v5
	v_add_nc_u64_e32 v[18:19], 1, v[10:11]
	v_cndmask_b32_e64 v5, 0, -1, vcc_lo
	s_delay_alu instid0(VALU_DEP_4)
	v_cmp_le_u32_e32 vcc_lo, s43, v1
	v_cndmask_b32_e64 v15, 0, -1, vcc_lo
	v_cmp_le_u32_e32 vcc_lo, s42, v3
	v_cndmask_b32_e64 v3, 0, -1, vcc_lo
	;; [unrolled: 2-line block ×3, first 2 shown]
	v_cmp_eq_u32_e32 vcc_lo, s43, v1
	v_cndmask_b32_e32 v1, v15, v5, vcc_lo
	v_cmp_eq_u32_e32 vcc_lo, s43, v13
	s_delay_alu instid0(VALU_DEP_4) | instskip(NEXT) | instid1(VALU_DEP_3)
	v_cndmask_b32_e32 v3, v20, v3, vcc_lo
	v_cmp_ne_u32_e32 vcc_lo, 0, v1
	s_delay_alu instid0(VALU_DEP_2) | instskip(SKIP_1) | instid1(VALU_DEP_1)
	v_cmp_ne_u32_e64 s0, 0, v3
	v_dual_cndmask_b32 v1, v19, v17, vcc_lo :: v_dual_cndmask_b32 v3, v18, v16, vcc_lo
	v_dual_cndmask_b32 v1, v11, v1, s0 :: v_dual_cndmask_b32 v3, v10, v3, s0
	s_delay_alu instid0(VALU_DEP_1) | instskip(NEXT) | instid1(VALU_DEP_2)
	v_dual_mov_b32 v13, v12 :: v_dual_bitop2_b32 v11, v1, v12 bitop3:0x14
	v_xor_b32_e32 v10, v3, v12
	s_delay_alu instid0(VALU_DEP_1)
	v_sub_nc_u64_e32 v[12:13], v[10:11], v[12:13]
.LBB9_46:
	s_and_not1_saveexec_b32 s0, s1
	s_cbranch_execz .LBB9_48
; %bb.47:
	v_cvt_f32_u32_e32 v1, s12
	s_sub_co_i32 s1, 0, s12
	v_mov_b32_e32 v13, 0
	s_delay_alu instid0(VALU_DEP_2) | instskip(SKIP_1) | instid1(TRANS32_DEP_1)
	v_rcp_iflag_f32_e32 v1, v1
	v_nop
	v_mul_f32_e32 v1, 0x4f7ffffe, v1
	s_delay_alu instid0(VALU_DEP_1) | instskip(NEXT) | instid1(VALU_DEP_1)
	v_cvt_u32_f32_e32 v1, v1
	v_mul_lo_u32 v3, s1, v1
	s_delay_alu instid0(VALU_DEP_1) | instskip(NEXT) | instid1(VALU_DEP_1)
	v_mul_hi_u32 v3, v1, v3
	v_add_nc_u32_e32 v1, v1, v3
	s_delay_alu instid0(VALU_DEP_1) | instskip(NEXT) | instid1(VALU_DEP_1)
	v_mul_hi_u32 v1, v6, v1
	v_mul_lo_u32 v3, v1, s12
	s_delay_alu instid0(VALU_DEP_1) | instskip(NEXT) | instid1(VALU_DEP_1)
	v_sub_nc_u32_e32 v3, v6, v3
	v_subrev_nc_u32_e32 v10, s12, v3
	v_cmp_le_u32_e32 vcc_lo, s12, v3
	s_delay_alu instid0(VALU_DEP_2) | instskip(NEXT) | instid1(VALU_DEP_1)
	v_dual_add_nc_u32 v5, 1, v1 :: v_dual_cndmask_b32 v3, v3, v10, vcc_lo
	v_cndmask_b32_e32 v1, v1, v5, vcc_lo
	s_delay_alu instid0(VALU_DEP_2) | instskip(NEXT) | instid1(VALU_DEP_2)
	v_cmp_le_u32_e32 vcc_lo, s12, v3
	v_add_nc_u32_e32 v5, 1, v1
	s_delay_alu instid0(VALU_DEP_1)
	v_cndmask_b32_e32 v12, v1, v5, vcc_lo
.LBB9_48:
	s_or_b32 exec_lo, exec_lo, s0
	v_mul_u64_e32 v[16:17], s[12:13], v[8:9]
	s_delay_alu instid0(VALU_DEP_2) | instskip(SKIP_2) | instid1(VALU_DEP_2)
	v_min_i64 v[10:11], v[12:13], s[2:3]
	s_mov_b32 s14, 0
	s_mov_b32 s15, exec_lo
	v_add_nc_u64_e32 v[12:13], s[10:11], v[16:17]
	v_cmp_gt_i64_e32 vcc_lo, v[16:17], v[6:7]
	s_delay_alu instid0(VALU_DEP_2) | instskip(SKIP_2) | instid1(SALU_CYCLE_1)
	v_cmp_ge_i64_e64 s0, v[6:7], v[12:13]
	v_mov_b32_e32 v13, s14
	s_or_b32 s0, vcc_lo, s0
	v_cndmask_b32_e64 v12, 0, 1, s0
	s_delay_alu instid0(VALU_DEP_1) | instskip(NEXT) | instid1(VALU_DEP_1)
	v_add_nc_u64_e32 v[8:9], v[8:9], v[12:13]
	v_cmpx_le_i64_e64 v[8:9], v[10:11]
	s_cbranch_execz .LBB9_51
; %bb.49:
	global_load_u16 v1, v2, s[4:5]
	v_mul_u64_e32 v[12:13], s[12:13], v[8:9]
	v_mov_b32_e32 v3, 0
	s_mul_u64 s[0:1], s[12:13], s[18:19]
	s_lshl_b64 s[42:43], s[16:17], 1
	s_lshl_b64 s[0:1], s[0:1], 1
	s_delay_alu instid0(VALU_DEP_1) | instskip(SKIP_3) | instid1(VALU_DEP_4)
	v_mov_b32_e32 v5, v3
	s_wait_xcnt 0x0
	v_add_nc_u64_e32 v[2:3], s[4:5], v[2:3]
	s_sub_nc_u64 s[0:1], s[42:43], s[0:1]
	v_sub_nc_u64_e32 v[6:7], v[6:7], v[12:13]
	v_mul_u64_e32 v[12:13], s[16:17], v[8:9]
	s_delay_alu instid0(VALU_DEP_2) | instskip(NEXT) | instid1(VALU_DEP_2)
	v_mul_u64_e32 v[6:7], s[18:19], v[6:7]
	v_lshlrev_b64_e32 v[12:13], 1, v[12:13]
	s_delay_alu instid0(VALU_DEP_1) | instskip(NEXT) | instid1(VALU_DEP_1)
	v_lshl_add_u64 v[6:7], v[6:7], 1, v[12:13]
	v_add_nc_u64_e32 v[6:7], v[6:7], v[4:5]
	v_add_nc_u64_e32 v[4:5], -1, v[8:9]
	s_delay_alu instid0(VALU_DEP_2)
	v_add_nc_u64_e32 v[6:7], s[6:7], v[6:7]
.LBB9_50:                               ; =>This Inner Loop Header: Depth=1
	global_load_u16 v8, v[6:7], off
	v_add_nc_u64_e32 v[4:5], 1, v[4:5]
	s_wait_xcnt 0x0
	v_add_nc_u64_e32 v[6:7], s[0:1], v[6:7]
	s_delay_alu instid0(VALU_DEP_2)
	v_cmp_ge_i64_e32 vcc_lo, v[4:5], v[10:11]
	s_or_b32 s14, vcc_lo, s14
	s_wait_loadcnt 0x0
	v_add_f16_e32 v1, v1, v8
	global_store_b16 v[2:3], v1, off
	s_wait_xcnt 0x0
	s_and_not1_b32 exec_lo, exec_lo, s14
	s_cbranch_execnz .LBB9_50
.LBB9_51:
	s_or_b32 exec_lo, exec_lo, s15
	v_add_nc_u32_e32 v0, 0x100, v0
	s_or_b32 exec_lo, exec_lo, s29
	s_delay_alu instid0(SALU_CYCLE_1) | instskip(NEXT) | instid1(VALU_DEP_1)
	s_mov_b32 s29, exec_lo
	v_cmpx_gt_i32_e64 s31, v0
	s_cbranch_execz .LBB9_3
.LBB9_52:
	v_cmp_ne_u32_e32 vcc_lo, 1, v14
	s_cbranch_vccnz .LBB9_59
; %bb.53:
	v_dual_mov_b32 v3, 0 :: v_dual_mov_b32 v4, 0
	v_mov_b32_e32 v2, 0
	s_and_not1_b32 vcc_lo, exec_lo, s33
	s_cbranch_vccnz .LBB9_58
; %bb.54:
	v_dual_mov_b32 v2, 0 :: v_dual_mov_b32 v1, v0
	v_dual_mov_b32 v4, 0 :: v_dual_mov_b32 v3, 0
	s_add_co_i32 s14, s22, 1
	s_mov_b64 s[0:1], 0xffffffffffffffe8
	s_and_b32 s14, s14, 30
	s_add_nc_u64 s[0:1], s[40:41], s[0:1]
.LBB9_55:                               ; =>This Inner Loop Header: Depth=1
	s_clause 0x1
	s_load_b128 s[44:47], s[0:1], 0x1c
	s_load_b64 s[42:43], s[0:1], 0x2c
	s_add_co_i32 s14, s14, -2
	s_delay_alu instid0(SALU_CYCLE_1) | instskip(SKIP_2) | instid1(VALU_DEP_1)
	s_cmp_eq_u32 s14, 0
	s_wait_kmcnt 0x0
	v_mul_hi_u32 v5, s45, v1
	v_add_nc_u32_e32 v5, v1, v5
	s_delay_alu instid0(VALU_DEP_1) | instskip(NEXT) | instid1(VALU_DEP_1)
	v_lshrrev_b32_e32 v5, s46, v5
	v_mul_hi_u32 v6, s42, v5
	v_mul_lo_u32 v7, v5, s44
	s_clause 0x1
	s_load_b128 s[48:51], s[0:1], 0xdc
	s_load_b64 s[44:45], s[0:1], 0xec
	s_wait_xcnt 0x0
	s_add_nc_u64 s[0:1], s[0:1], 24
	s_delay_alu instid0(VALU_DEP_2) | instskip(NEXT) | instid1(VALU_DEP_1)
	v_add_nc_u32_e32 v6, v5, v6
	v_dual_sub_nc_u32 v7, v1, v7 :: v_dual_lshrrev_b32 v1, s43, v6
	s_wait_kmcnt 0x0
	s_delay_alu instid0(VALU_DEP_1) | instskip(NEXT) | instid1(VALU_DEP_2)
	v_mad_u32 v2, v7, s48, v2
	v_mul_lo_u32 v6, v1, s47
	v_mad_u32 v3, v7, s50, v3
	v_mad_u32 v4, v7, s49, v4
	s_delay_alu instid0(VALU_DEP_3) | instskip(NEXT) | instid1(VALU_DEP_1)
	v_sub_nc_u32_e32 v5, v5, v6
	v_mad_u32 v2, v5, s51, v2
	s_delay_alu instid0(VALU_DEP_4) | instskip(NEXT) | instid1(VALU_DEP_4)
	v_mad_u32 v3, v5, s45, v3
	v_mad_u32 v4, v5, s44, v4
	s_cbranch_scc0 .LBB9_55
; %bb.56:
	s_bitcmp1_b32 s22, 0
	s_cselect_b32 s14, -1, 0
	s_delay_alu instid0(SALU_CYCLE_1)
	s_and_b32 vcc_lo, exec_lo, s14
	s_cbranch_vccnz .LBB9_58
; %bb.57:
	s_clause 0x1
	s_load_b96 s[44:46], s[0:1], 0x1c
	s_load_b96 s[48:50], s[0:1], 0xdc
	s_wait_kmcnt 0x0
	v_mul_hi_u32 v5, s45, v1
	s_delay_alu instid0(VALU_DEP_1) | instskip(NEXT) | instid1(VALU_DEP_1)
	v_add_nc_u32_e32 v5, v1, v5
	v_lshrrev_b32_e32 v5, s46, v5
	s_delay_alu instid0(VALU_DEP_1) | instskip(NEXT) | instid1(VALU_DEP_1)
	v_mul_lo_u32 v5, v5, s44
	v_sub_nc_u32_e32 v1, v1, v5
	s_delay_alu instid0(VALU_DEP_1)
	v_mad_u32 v2, v1, s48, v2
	v_mad_u32 v4, v1, s49, v4
	;; [unrolled: 1-line block ×3, first 2 shown]
.LBB9_58:
	s_cbranch_execz .LBB9_60
	s_branch .LBB9_62
.LBB9_59:
                                        ; implicit-def: $vgpr3
                                        ; implicit-def: $vgpr4
                                        ; implicit-def: $vgpr2
.LBB9_60:
	v_mov_b32_e32 v1, 0
	s_and_not1_b32 vcc_lo, exec_lo, s20
	s_delay_alu instid0(VALU_DEP_1) | instskip(NEXT) | instid1(VALU_DEP_1)
	v_mul_u64_e32 v[2:3], s[36:37], v[0:1]
	v_add_nc_u32_e32 v2, v0, v3
	s_delay_alu instid0(VALU_DEP_1) | instskip(NEXT) | instid1(VALU_DEP_1)
	v_lshrrev_b32_e32 v6, s23, v2
	v_mul_lo_u32 v2, v6, s21
	s_delay_alu instid0(VALU_DEP_1) | instskip(NEXT) | instid1(VALU_DEP_1)
	v_sub_nc_u32_e32 v4, v0, v2
	v_mul_lo_u32 v2, v4, s24
	v_mul_lo_u32 v3, v4, s26
	v_mul_lo_u32 v4, v4, s25
	s_cbranch_vccnz .LBB9_62
; %bb.61:
	v_mov_b32_e32 v7, v1
	s_delay_alu instid0(VALU_DEP_1) | instskip(NEXT) | instid1(VALU_DEP_1)
	v_mul_u64_e32 v[8:9], s[38:39], v[6:7]
	v_add_nc_u32_e32 v1, v6, v9
	s_delay_alu instid0(VALU_DEP_1) | instskip(NEXT) | instid1(VALU_DEP_1)
	v_lshrrev_b32_e32 v1, s30, v1
	v_mul_lo_u32 v1, v1, s28
	s_delay_alu instid0(VALU_DEP_1) | instskip(NEXT) | instid1(VALU_DEP_1)
	v_sub_nc_u32_e32 v1, v6, v1
	v_mad_u32 v2, v1, s27, v2
	v_mad_u32 v4, v1, s34, v4
	;; [unrolled: 1-line block ×3, first 2 shown]
.LBB9_62:
	global_load_b64 v[6:7], v3, s[8:9]
	v_mov_b64_e32 v[8:9], 0
	s_mov_b32 s1, exec_lo
	s_wait_loadcnt 0x0
	v_cmpx_lt_i64_e64 s[10:11], v[6:7]
	s_cbranch_execz .LBB9_68
; %bb.63:
	v_sub_nc_u64_e64 v[12:13], v[6:7], s[10:11]
                                        ; implicit-def: $vgpr8_vgpr9
	s_mov_b32 s0, exec_lo
	s_delay_alu instid0(VALU_DEP_1) | instskip(NEXT) | instid1(VALU_DEP_1)
	v_dual_mov_b32 v10, 0 :: v_dual_bitop2_b32 v11, s13, v13 bitop3:0x54
	v_cmpx_ne_u64_e32 0, v[10:11]
	s_xor_b32 s44, exec_lo, s0
	s_cbranch_execz .LBB9_65
; %bb.64:
	s_ashr_i32 s14, s13, 31
	s_mov_b32 s53, 0
	s_mov_b32 s15, s14
	v_dual_mov_b32 v17, v10 :: v_dual_ashrrev_i32 v8, 31, v13
	s_add_nc_u64 s[42:43], s[12:13], s[14:15]
	v_mov_b32_e32 v19, v10
	s_xor_b64 s[42:43], s[42:43], s[14:15]
	s_delay_alu instid0(VALU_DEP_2)
	v_mov_b32_e32 v9, v8
	s_cvt_f32_u32 s0, s42
	s_cvt_f32_u32 s15, s43
	s_sub_nc_u64 s[48:49], 0, s[42:43]
	v_mov_b32_e32 v25, v10
	v_add_nc_u64_e32 v[12:13], v[12:13], v[8:9]
	s_fmamk_f32 s0, s15, 0x4f800000, s0
	v_mov_b32_e32 v11, v10
	s_delay_alu instid0(SALU_CYCLE_2) | instskip(NEXT) | instid1(VALU_DEP_2)
	v_s_rcp_f32 s0, s0
	v_xor_b32_e32 v16, v12, v8
	s_delay_alu instid0(VALU_DEP_3) | instskip(SKIP_1) | instid1(TRANS32_DEP_1)
	v_xor_b32_e32 v18, v13, v8
	v_xor_b32_e32 v8, s14, v8
	s_mul_f32 s0, s0, 0x5f7ffffc
	s_delay_alu instid0(SALU_CYCLE_3) | instskip(NEXT) | instid1(SALU_CYCLE_3)
	s_mul_f32 s15, s0, 0x2f800000
	s_trunc_f32 s15, s15
	s_delay_alu instid0(SALU_CYCLE_3) | instskip(SKIP_1) | instid1(SALU_CYCLE_2)
	s_fmamk_f32 s0, s15, 0xcf800000, s0
	s_cvt_u32_f32 s47, s15
	s_cvt_u32_f32 s46, s0
	s_delay_alu instid0(SALU_CYCLE_3) | instskip(NEXT) | instid1(SALU_CYCLE_1)
	s_mul_u64 s[50:51], s[48:49], s[46:47]
	s_mul_hi_u32 s55, s46, s51
	s_mul_i32 s54, s46, s51
	s_mul_hi_u32 s52, s46, s50
	s_mul_i32 s15, s47, s50
	s_add_nc_u64 s[54:55], s[52:53], s[54:55]
	s_mul_hi_u32 s0, s47, s50
	s_mul_hi_u32 s45, s47, s51
	s_add_co_u32 s15, s54, s15
	s_add_co_ci_u32 s52, s55, s0
	s_mul_i32 s50, s47, s51
	s_add_co_ci_u32 s51, s45, 0
	s_delay_alu instid0(SALU_CYCLE_1) | instskip(NEXT) | instid1(SALU_CYCLE_1)
	s_add_nc_u64 s[50:51], s[52:53], s[50:51]
	s_add_co_u32 s46, s46, s50
	s_cselect_b32 s0, -1, 0
	s_delay_alu instid0(SALU_CYCLE_1) | instskip(SKIP_1) | instid1(SALU_CYCLE_1)
	s_cmp_lg_u32 s0, 0
	s_add_co_ci_u32 s47, s47, s51
	s_mul_u64 s[48:49], s[48:49], s[46:47]
	s_delay_alu instid0(SALU_CYCLE_1)
	s_mul_hi_u32 s51, s46, s49
	s_mul_i32 s50, s46, s49
	s_mul_hi_u32 s52, s46, s48
	s_mul_i32 s15, s47, s48
	s_add_nc_u64 s[50:51], s[52:53], s[50:51]
	s_mul_hi_u32 s0, s47, s48
	s_mul_hi_u32 s45, s47, s49
	s_add_co_u32 s15, s50, s15
	s_add_co_ci_u32 s52, s51, s0
	s_mul_i32 s48, s47, s49
	s_add_co_ci_u32 s49, s45, 0
	s_delay_alu instid0(SALU_CYCLE_1) | instskip(NEXT) | instid1(SALU_CYCLE_1)
	s_add_nc_u64 s[48:49], s[52:53], s[48:49]
	s_add_co_u32 s0, s46, s48
	s_cselect_b32 s15, -1, 0
	v_mul_hi_u32 v24, v16, s0
	s_cmp_lg_u32 s15, 0
	s_add_co_ci_u32 s52, s47, s49
	s_mov_b64 s[46:47], 0xffffffff
	v_mul_u64_e32 v[20:21], s[52:53], v[16:17]
	s_and_b64 s[46:47], s[0:1], s[46:47]
	v_mul_u64_e32 v[22:23], s[52:53], v[18:19]
	v_mul_u64_e32 v[12:13], s[46:47], v[18:19]
	s_delay_alu instid0(VALU_DEP_3) | instskip(NEXT) | instid1(VALU_DEP_1)
	v_add_nc_u64_e32 v[20:21], v[24:25], v[20:21]
	v_add_co_u32 v1, vcc_lo, v20, v12
	s_delay_alu instid0(VALU_DEP_2) | instskip(SKIP_1) | instid1(VALU_DEP_1)
	v_add_co_ci_u32_e32 v10, vcc_lo, v21, v13, vcc_lo
	v_add_co_ci_u32_e32 v23, vcc_lo, 0, v23, vcc_lo
	v_add_nc_u64_e32 v[10:11], v[10:11], v[22:23]
	s_delay_alu instid0(VALU_DEP_1) | instskip(NEXT) | instid1(VALU_DEP_1)
	v_mul_u64_e32 v[12:13], s[42:43], v[10:11]
	v_sub_nc_u32_e32 v1, v18, v13
	s_delay_alu instid0(VALU_DEP_2) | instskip(NEXT) | instid1(VALU_DEP_1)
	v_sub_co_u32 v3, vcc_lo, v16, v12
	v_sub_co_ci_u32_e64 v9, null, v18, v13, vcc_lo
	s_delay_alu instid0(VALU_DEP_3) | instskip(NEXT) | instid1(VALU_DEP_3)
	v_subrev_co_ci_u32_e64 v1, null, s43, v1, vcc_lo
	v_sub_co_u32 v5, s0, v3, s42
	v_add_nc_u64_e32 v[16:17], 1, v[10:11]
	s_delay_alu instid0(VALU_DEP_3) | instskip(NEXT) | instid1(VALU_DEP_3)
	v_subrev_co_ci_u32_e64 v1, null, 0, v1, s0
	v_cmp_le_u32_e32 vcc_lo, s42, v5
	v_cndmask_b32_e64 v5, 0, -1, vcc_lo
	s_delay_alu instid0(VALU_DEP_3)
	v_cmp_le_u32_e32 vcc_lo, s43, v1
	v_cndmask_b32_e64 v12, 0, -1, vcc_lo
	v_cmp_le_u32_e32 vcc_lo, s42, v3
	v_cndmask_b32_e64 v3, 0, -1, vcc_lo
	;; [unrolled: 2-line block ×3, first 2 shown]
	v_cmp_eq_u32_e32 vcc_lo, s43, v1
	v_cndmask_b32_e32 v1, v12, v5, vcc_lo
	v_cmp_eq_u32_e32 vcc_lo, s43, v9
	v_add_nc_u64_e32 v[12:13], 2, v[10:11]
	v_cndmask_b32_e32 v3, v15, v3, vcc_lo
	s_delay_alu instid0(VALU_DEP_4) | instskip(NEXT) | instid1(VALU_DEP_2)
	v_cmp_ne_u32_e32 vcc_lo, 0, v1
	v_cmp_ne_u32_e64 s0, 0, v3
	s_delay_alu instid0(VALU_DEP_4) | instskip(NEXT) | instid1(VALU_DEP_1)
	v_dual_cndmask_b32 v1, v17, v13, vcc_lo :: v_dual_cndmask_b32 v3, v16, v12, vcc_lo
                                        ; implicit-def: $vgpr12_vgpr13
	v_dual_cndmask_b32 v1, v11, v1, s0 :: v_dual_cndmask_b32 v3, v10, v3, s0
	s_delay_alu instid0(VALU_DEP_1) | instskip(NEXT) | instid1(VALU_DEP_2)
	v_dual_mov_b32 v9, v8 :: v_dual_bitop2_b32 v11, v1, v8 bitop3:0x14
	v_xor_b32_e32 v10, v3, v8
	s_delay_alu instid0(VALU_DEP_1)
	v_sub_nc_u64_e32 v[8:9], v[10:11], v[8:9]
.LBB9_65:
	s_and_not1_saveexec_b32 s0, s44
	s_cbranch_execz .LBB9_67
; %bb.66:
	v_cvt_f32_u32_e32 v1, s12
	s_sub_co_i32 s14, 0, s12
	v_mov_b32_e32 v9, 0
	s_delay_alu instid0(VALU_DEP_2) | instskip(SKIP_1) | instid1(TRANS32_DEP_1)
	v_rcp_iflag_f32_e32 v1, v1
	v_nop
	v_mul_f32_e32 v1, 0x4f7ffffe, v1
	s_delay_alu instid0(VALU_DEP_1) | instskip(NEXT) | instid1(VALU_DEP_1)
	v_cvt_u32_f32_e32 v1, v1
	v_mul_lo_u32 v3, s14, v1
	s_delay_alu instid0(VALU_DEP_1) | instskip(NEXT) | instid1(VALU_DEP_1)
	v_mul_hi_u32 v3, v1, v3
	v_add_nc_u32_e32 v1, v1, v3
	s_delay_alu instid0(VALU_DEP_1) | instskip(NEXT) | instid1(VALU_DEP_1)
	v_mul_hi_u32 v1, v12, v1
	v_mul_lo_u32 v3, v1, s12
	s_delay_alu instid0(VALU_DEP_1) | instskip(NEXT) | instid1(VALU_DEP_1)
	v_sub_nc_u32_e32 v3, v12, v3
	v_subrev_nc_u32_e32 v8, s12, v3
	v_cmp_le_u32_e32 vcc_lo, s12, v3
	s_delay_alu instid0(VALU_DEP_2) | instskip(NEXT) | instid1(VALU_DEP_1)
	v_dual_add_nc_u32 v5, 1, v1 :: v_dual_cndmask_b32 v3, v3, v8, vcc_lo
	v_cndmask_b32_e32 v1, v1, v5, vcc_lo
	s_delay_alu instid0(VALU_DEP_2) | instskip(NEXT) | instid1(VALU_DEP_2)
	v_cmp_le_u32_e32 vcc_lo, s12, v3
	v_add_nc_u32_e32 v5, 1, v1
	s_delay_alu instid0(VALU_DEP_1)
	v_cndmask_b32_e32 v8, v1, v5, vcc_lo
.LBB9_67:
	s_or_b32 exec_lo, exec_lo, s0
.LBB9_68:
	s_delay_alu instid0(SALU_CYCLE_1) | instskip(SKIP_2) | instid1(VALU_DEP_1)
	s_or_b32 exec_lo, exec_lo, s1
	v_dual_mov_b32 v10, 0 :: v_dual_bitop2_b32 v11, s13, v7 bitop3:0x54
                                        ; implicit-def: $vgpr12_vgpr13
	s_mov_b32 s0, exec_lo
	v_cmpx_ne_u64_e32 0, v[10:11]
	s_xor_b32 s1, exec_lo, s0
	s_cbranch_execz .LBB9_70
; %bb.69:
	s_ashr_i32 s14, s13, 31
	s_mov_b32 s51, 0
	s_mov_b32 s15, s14
	v_dual_mov_b32 v19, v10 :: v_dual_ashrrev_i32 v12, 31, v7
	s_add_nc_u64 s[42:43], s[12:13], s[14:15]
	v_mov_b32_e32 v21, v10
	s_xor_b64 s[42:43], s[42:43], s[14:15]
	s_delay_alu instid0(VALU_DEP_2)
	v_mov_b32_e32 v13, v12
	s_cvt_f32_u32 s0, s42
	s_cvt_f32_u32 s15, s43
	s_sub_nc_u64 s[46:47], 0, s[42:43]
	v_mov_b32_e32 v27, v10
	v_add_nc_u64_e32 v[16:17], v[6:7], v[12:13]
	s_fmamk_f32 s0, s15, 0x4f800000, s0
	v_mov_b32_e32 v11, v10
	s_delay_alu instid0(SALU_CYCLE_2) | instskip(NEXT) | instid1(VALU_DEP_2)
	v_s_rcp_f32 s0, s0
	v_xor_b32_e32 v18, v16, v12
	s_delay_alu instid0(VALU_DEP_3) | instskip(SKIP_1) | instid1(TRANS32_DEP_1)
	v_xor_b32_e32 v20, v17, v12
	v_xor_b32_e32 v12, s14, v12
	s_mul_f32 s0, s0, 0x5f7ffffc
	s_delay_alu instid0(SALU_CYCLE_3) | instskip(NEXT) | instid1(SALU_CYCLE_3)
	s_mul_f32 s15, s0, 0x2f800000
	s_trunc_f32 s15, s15
	s_delay_alu instid0(SALU_CYCLE_3) | instskip(SKIP_1) | instid1(SALU_CYCLE_2)
	s_fmamk_f32 s0, s15, 0xcf800000, s0
	s_cvt_u32_f32 s45, s15
	s_cvt_u32_f32 s44, s0
	s_delay_alu instid0(SALU_CYCLE_3) | instskip(NEXT) | instid1(SALU_CYCLE_1)
	s_mul_u64 s[48:49], s[46:47], s[44:45]
	s_mul_hi_u32 s53, s44, s49
	s_mul_i32 s52, s44, s49
	s_mul_hi_u32 s50, s44, s48
	s_mul_i32 s15, s45, s48
	s_add_nc_u64 s[52:53], s[50:51], s[52:53]
	s_mul_hi_u32 s0, s45, s48
	s_mul_hi_u32 s54, s45, s49
	s_add_co_u32 s15, s52, s15
	s_add_co_ci_u32 s50, s53, s0
	s_mul_i32 s48, s45, s49
	s_add_co_ci_u32 s49, s54, 0
	s_delay_alu instid0(SALU_CYCLE_1) | instskip(NEXT) | instid1(SALU_CYCLE_1)
	s_add_nc_u64 s[48:49], s[50:51], s[48:49]
	s_add_co_u32 s44, s44, s48
	s_cselect_b32 s0, -1, 0
	s_delay_alu instid0(SALU_CYCLE_1) | instskip(SKIP_1) | instid1(SALU_CYCLE_1)
	s_cmp_lg_u32 s0, 0
	s_add_co_ci_u32 s45, s45, s49
	s_mul_u64 s[46:47], s[46:47], s[44:45]
	s_delay_alu instid0(SALU_CYCLE_1)
	s_mul_hi_u32 s49, s44, s47
	s_mul_i32 s48, s44, s47
	s_mul_hi_u32 s50, s44, s46
	s_mul_i32 s15, s45, s46
	s_add_nc_u64 s[48:49], s[50:51], s[48:49]
	s_mul_hi_u32 s0, s45, s46
	s_mul_hi_u32 s52, s45, s47
	s_add_co_u32 s15, s48, s15
	s_add_co_ci_u32 s50, s49, s0
	s_mul_i32 s46, s45, s47
	s_add_co_ci_u32 s47, s52, 0
	s_delay_alu instid0(SALU_CYCLE_1) | instskip(NEXT) | instid1(SALU_CYCLE_1)
	s_add_nc_u64 s[46:47], s[50:51], s[46:47]
	s_add_co_u32 s0, s44, s46
	s_cselect_b32 s15, -1, 0
	v_mul_hi_u32 v26, v18, s0
	s_cmp_lg_u32 s15, 0
	s_add_co_ci_u32 s50, s45, s47
	s_mov_b64 s[44:45], 0xffffffff
	v_mul_u64_e32 v[22:23], s[50:51], v[18:19]
	s_and_b64 s[44:45], s[0:1], s[44:45]
	v_mul_u64_e32 v[24:25], s[50:51], v[20:21]
	v_mul_u64_e32 v[16:17], s[44:45], v[20:21]
	s_delay_alu instid0(VALU_DEP_3) | instskip(NEXT) | instid1(VALU_DEP_1)
	v_add_nc_u64_e32 v[22:23], v[26:27], v[22:23]
	v_add_co_u32 v1, vcc_lo, v22, v16
	s_delay_alu instid0(VALU_DEP_2) | instskip(SKIP_1) | instid1(VALU_DEP_1)
	v_add_co_ci_u32_e32 v10, vcc_lo, v23, v17, vcc_lo
	v_add_co_ci_u32_e32 v25, vcc_lo, 0, v25, vcc_lo
	v_add_nc_u64_e32 v[10:11], v[10:11], v[24:25]
	s_delay_alu instid0(VALU_DEP_1) | instskip(NEXT) | instid1(VALU_DEP_1)
	v_mul_u64_e32 v[16:17], s[42:43], v[10:11]
	v_sub_nc_u32_e32 v1, v20, v17
	s_delay_alu instid0(VALU_DEP_2) | instskip(NEXT) | instid1(VALU_DEP_1)
	v_sub_co_u32 v3, vcc_lo, v18, v16
	v_sub_co_ci_u32_e64 v13, null, v20, v17, vcc_lo
	s_delay_alu instid0(VALU_DEP_3) | instskip(NEXT) | instid1(VALU_DEP_3)
	v_subrev_co_ci_u32_e64 v1, null, s43, v1, vcc_lo
	v_sub_co_u32 v5, s0, v3, s42
	v_add_nc_u64_e32 v[16:17], 2, v[10:11]
	s_delay_alu instid0(VALU_DEP_3) | instskip(NEXT) | instid1(VALU_DEP_3)
	v_subrev_co_ci_u32_e64 v1, null, 0, v1, s0
	v_cmp_le_u32_e32 vcc_lo, s42, v5
	v_add_nc_u64_e32 v[18:19], 1, v[10:11]
	v_cndmask_b32_e64 v5, 0, -1, vcc_lo
	s_delay_alu instid0(VALU_DEP_4)
	v_cmp_le_u32_e32 vcc_lo, s43, v1
	v_cndmask_b32_e64 v15, 0, -1, vcc_lo
	v_cmp_le_u32_e32 vcc_lo, s42, v3
	v_cndmask_b32_e64 v3, 0, -1, vcc_lo
	;; [unrolled: 2-line block ×3, first 2 shown]
	v_cmp_eq_u32_e32 vcc_lo, s43, v1
	v_cndmask_b32_e32 v1, v15, v5, vcc_lo
	v_cmp_eq_u32_e32 vcc_lo, s43, v13
	s_delay_alu instid0(VALU_DEP_4) | instskip(NEXT) | instid1(VALU_DEP_3)
	v_cndmask_b32_e32 v3, v20, v3, vcc_lo
	v_cmp_ne_u32_e32 vcc_lo, 0, v1
	s_delay_alu instid0(VALU_DEP_2) | instskip(SKIP_1) | instid1(VALU_DEP_1)
	v_cmp_ne_u32_e64 s0, 0, v3
	v_dual_cndmask_b32 v1, v19, v17, vcc_lo :: v_dual_cndmask_b32 v3, v18, v16, vcc_lo
	v_dual_cndmask_b32 v1, v11, v1, s0 :: v_dual_cndmask_b32 v3, v10, v3, s0
	s_delay_alu instid0(VALU_DEP_1) | instskip(NEXT) | instid1(VALU_DEP_2)
	v_dual_mov_b32 v13, v12 :: v_dual_bitop2_b32 v11, v1, v12 bitop3:0x14
	v_xor_b32_e32 v10, v3, v12
	s_delay_alu instid0(VALU_DEP_1)
	v_sub_nc_u64_e32 v[12:13], v[10:11], v[12:13]
.LBB9_70:
	s_and_not1_saveexec_b32 s0, s1
	s_cbranch_execz .LBB9_72
; %bb.71:
	v_cvt_f32_u32_e32 v1, s12
	s_sub_co_i32 s1, 0, s12
	v_mov_b32_e32 v13, 0
	s_delay_alu instid0(VALU_DEP_2) | instskip(SKIP_1) | instid1(TRANS32_DEP_1)
	v_rcp_iflag_f32_e32 v1, v1
	v_nop
	v_mul_f32_e32 v1, 0x4f7ffffe, v1
	s_delay_alu instid0(VALU_DEP_1) | instskip(NEXT) | instid1(VALU_DEP_1)
	v_cvt_u32_f32_e32 v1, v1
	v_mul_lo_u32 v3, s1, v1
	s_delay_alu instid0(VALU_DEP_1) | instskip(NEXT) | instid1(VALU_DEP_1)
	v_mul_hi_u32 v3, v1, v3
	v_add_nc_u32_e32 v1, v1, v3
	s_delay_alu instid0(VALU_DEP_1) | instskip(NEXT) | instid1(VALU_DEP_1)
	v_mul_hi_u32 v1, v6, v1
	v_mul_lo_u32 v3, v1, s12
	s_delay_alu instid0(VALU_DEP_1) | instskip(NEXT) | instid1(VALU_DEP_1)
	v_sub_nc_u32_e32 v3, v6, v3
	v_subrev_nc_u32_e32 v10, s12, v3
	v_cmp_le_u32_e32 vcc_lo, s12, v3
	s_delay_alu instid0(VALU_DEP_2) | instskip(NEXT) | instid1(VALU_DEP_1)
	v_dual_add_nc_u32 v5, 1, v1 :: v_dual_cndmask_b32 v3, v3, v10, vcc_lo
	v_cndmask_b32_e32 v1, v1, v5, vcc_lo
	s_delay_alu instid0(VALU_DEP_2) | instskip(NEXT) | instid1(VALU_DEP_2)
	v_cmp_le_u32_e32 vcc_lo, s12, v3
	v_add_nc_u32_e32 v5, 1, v1
	s_delay_alu instid0(VALU_DEP_1)
	v_cndmask_b32_e32 v12, v1, v5, vcc_lo
.LBB9_72:
	s_or_b32 exec_lo, exec_lo, s0
	v_mul_u64_e32 v[16:17], s[12:13], v[8:9]
	s_delay_alu instid0(VALU_DEP_2) | instskip(SKIP_2) | instid1(VALU_DEP_2)
	v_min_i64 v[10:11], v[12:13], s[2:3]
	s_mov_b32 s14, 0
	s_mov_b32 s15, exec_lo
	v_add_nc_u64_e32 v[12:13], s[10:11], v[16:17]
	v_cmp_gt_i64_e32 vcc_lo, v[16:17], v[6:7]
	s_delay_alu instid0(VALU_DEP_2) | instskip(SKIP_2) | instid1(SALU_CYCLE_1)
	v_cmp_ge_i64_e64 s0, v[6:7], v[12:13]
	v_mov_b32_e32 v13, s14
	s_or_b32 s0, vcc_lo, s0
	v_cndmask_b32_e64 v12, 0, 1, s0
	s_delay_alu instid0(VALU_DEP_1) | instskip(NEXT) | instid1(VALU_DEP_1)
	v_add_nc_u64_e32 v[8:9], v[8:9], v[12:13]
	v_cmpx_le_i64_e64 v[8:9], v[10:11]
	s_cbranch_execz .LBB9_75
; %bb.73:
	global_load_u16 v1, v2, s[4:5]
	v_mul_u64_e32 v[12:13], s[12:13], v[8:9]
	v_mov_b32_e32 v3, 0
	s_mul_u64 s[0:1], s[12:13], s[18:19]
	s_lshl_b64 s[42:43], s[16:17], 1
	s_lshl_b64 s[0:1], s[0:1], 1
	s_delay_alu instid0(VALU_DEP_1) | instskip(SKIP_3) | instid1(VALU_DEP_4)
	v_mov_b32_e32 v5, v3
	s_wait_xcnt 0x0
	v_add_nc_u64_e32 v[2:3], s[4:5], v[2:3]
	s_sub_nc_u64 s[0:1], s[42:43], s[0:1]
	v_sub_nc_u64_e32 v[6:7], v[6:7], v[12:13]
	v_mul_u64_e32 v[12:13], s[16:17], v[8:9]
	s_delay_alu instid0(VALU_DEP_2) | instskip(NEXT) | instid1(VALU_DEP_2)
	v_mul_u64_e32 v[6:7], s[18:19], v[6:7]
	v_lshlrev_b64_e32 v[12:13], 1, v[12:13]
	s_delay_alu instid0(VALU_DEP_1) | instskip(NEXT) | instid1(VALU_DEP_1)
	v_lshl_add_u64 v[6:7], v[6:7], 1, v[12:13]
	v_add_nc_u64_e32 v[6:7], v[6:7], v[4:5]
	v_add_nc_u64_e32 v[4:5], -1, v[8:9]
	s_delay_alu instid0(VALU_DEP_2)
	v_add_nc_u64_e32 v[6:7], s[6:7], v[6:7]
.LBB9_74:                               ; =>This Inner Loop Header: Depth=1
	global_load_u16 v8, v[6:7], off
	v_add_nc_u64_e32 v[4:5], 1, v[4:5]
	s_wait_xcnt 0x0
	v_add_nc_u64_e32 v[6:7], s[0:1], v[6:7]
	s_delay_alu instid0(VALU_DEP_2)
	v_cmp_ge_i64_e32 vcc_lo, v[4:5], v[10:11]
	s_or_b32 s14, vcc_lo, s14
	s_wait_loadcnt 0x0
	v_add_f16_e32 v1, v1, v8
	global_store_b16 v[2:3], v1, off
	s_wait_xcnt 0x0
	s_and_not1_b32 exec_lo, exec_lo, s14
	s_cbranch_execnz .LBB9_74
.LBB9_75:
	s_or_b32 exec_lo, exec_lo, s15
	v_add_nc_u32_e32 v0, 0x100, v0
	s_or_b32 exec_lo, exec_lo, s29
	s_delay_alu instid0(SALU_CYCLE_1) | instskip(NEXT) | instid1(VALU_DEP_1)
	s_mov_b32 s0, exec_lo
	v_cmpx_gt_i32_e64 s31, v0
	s_cbranch_execz .LBB9_99
.LBB9_76:
	v_cmp_ne_u32_e32 vcc_lo, 1, v14
	s_cbranch_vccnz .LBB9_83
; %bb.77:
	v_dual_mov_b32 v3, 0 :: v_dual_mov_b32 v4, 0
	v_mov_b32_e32 v2, 0
	s_and_not1_b32 vcc_lo, exec_lo, s33
	s_cbranch_vccnz .LBB9_82
; %bb.78:
	v_dual_mov_b32 v2, 0 :: v_dual_mov_b32 v1, v0
	v_dual_mov_b32 v4, 0 :: v_dual_mov_b32 v3, 0
	s_add_co_i32 s14, s22, 1
	s_mov_b64 s[0:1], 0xffffffffffffffe8
	s_and_b32 s14, s14, 30
	s_add_nc_u64 s[0:1], s[40:41], s[0:1]
.LBB9_79:                               ; =>This Inner Loop Header: Depth=1
	s_clause 0x1
	s_load_b128 s[40:43], s[0:1], 0x1c
	s_load_b64 s[48:49], s[0:1], 0x2c
	s_add_co_i32 s14, s14, -2
	s_delay_alu instid0(SALU_CYCLE_1) | instskip(SKIP_2) | instid1(VALU_DEP_1)
	s_cmp_eq_u32 s14, 0
	s_wait_kmcnt 0x0
	v_mul_hi_u32 v5, s41, v1
	v_add_nc_u32_e32 v5, v1, v5
	s_delay_alu instid0(VALU_DEP_1) | instskip(NEXT) | instid1(VALU_DEP_1)
	v_lshrrev_b32_e32 v5, s42, v5
	v_mul_hi_u32 v6, s48, v5
	v_mul_lo_u32 v7, v5, s40
	s_clause 0x1
	s_load_b128 s[44:47], s[0:1], 0xdc
	s_load_b64 s[40:41], s[0:1], 0xec
	s_wait_xcnt 0x0
	s_add_nc_u64 s[0:1], s[0:1], 24
	s_delay_alu instid0(VALU_DEP_2) | instskip(NEXT) | instid1(VALU_DEP_1)
	v_add_nc_u32_e32 v6, v5, v6
	v_dual_sub_nc_u32 v7, v1, v7 :: v_dual_lshrrev_b32 v1, s49, v6
	s_wait_kmcnt 0x0
	s_delay_alu instid0(VALU_DEP_1) | instskip(NEXT) | instid1(VALU_DEP_2)
	v_mad_u32 v2, v7, s44, v2
	v_mul_lo_u32 v6, v1, s43
	v_mad_u32 v3, v7, s46, v3
	v_mad_u32 v4, v7, s45, v4
	s_delay_alu instid0(VALU_DEP_3) | instskip(NEXT) | instid1(VALU_DEP_1)
	v_sub_nc_u32_e32 v5, v5, v6
	v_mad_u32 v2, v5, s47, v2
	s_delay_alu instid0(VALU_DEP_4) | instskip(NEXT) | instid1(VALU_DEP_4)
	v_mad_u32 v3, v5, s41, v3
	v_mad_u32 v4, v5, s40, v4
	s_cbranch_scc0 .LBB9_79
; %bb.80:
	s_bitcmp1_b32 s22, 0
	s_cselect_b32 s14, -1, 0
	s_delay_alu instid0(SALU_CYCLE_1)
	s_and_b32 vcc_lo, exec_lo, s14
	s_cbranch_vccnz .LBB9_82
; %bb.81:
	s_clause 0x1
	s_load_b96 s[40:42], s[0:1], 0x1c
	s_load_b96 s[44:46], s[0:1], 0xdc
	s_wait_kmcnt 0x0
	v_mul_hi_u32 v5, s41, v1
	s_delay_alu instid0(VALU_DEP_1) | instskip(NEXT) | instid1(VALU_DEP_1)
	v_add_nc_u32_e32 v5, v1, v5
	v_lshrrev_b32_e32 v5, s42, v5
	s_delay_alu instid0(VALU_DEP_1) | instskip(NEXT) | instid1(VALU_DEP_1)
	v_mul_lo_u32 v5, v5, s40
	v_sub_nc_u32_e32 v1, v1, v5
	s_delay_alu instid0(VALU_DEP_1)
	v_mad_u32 v2, v1, s44, v2
	v_mad_u32 v4, v1, s45, v4
	;; [unrolled: 1-line block ×3, first 2 shown]
.LBB9_82:
	s_cbranch_execz .LBB9_84
	s_branch .LBB9_86
.LBB9_83:
                                        ; implicit-def: $vgpr3
                                        ; implicit-def: $vgpr4
                                        ; implicit-def: $vgpr2
.LBB9_84:
	v_mov_b32_e32 v1, 0
	s_and_not1_b32 vcc_lo, exec_lo, s20
	s_delay_alu instid0(VALU_DEP_1) | instskip(NEXT) | instid1(VALU_DEP_1)
	v_mul_u64_e32 v[2:3], s[36:37], v[0:1]
	v_add_nc_u32_e32 v2, v0, v3
	s_delay_alu instid0(VALU_DEP_1) | instskip(NEXT) | instid1(VALU_DEP_1)
	v_lshrrev_b32_e32 v6, s23, v2
	v_mul_lo_u32 v2, v6, s21
	s_delay_alu instid0(VALU_DEP_1) | instskip(NEXT) | instid1(VALU_DEP_1)
	v_sub_nc_u32_e32 v0, v0, v2
	v_mul_lo_u32 v2, v0, s24
	v_mul_lo_u32 v3, v0, s26
	;; [unrolled: 1-line block ×3, first 2 shown]
	s_cbranch_vccnz .LBB9_86
; %bb.85:
	v_mov_b32_e32 v7, v1
	s_delay_alu instid0(VALU_DEP_1) | instskip(NEXT) | instid1(VALU_DEP_1)
	v_mul_u64_e32 v[0:1], s[38:39], v[6:7]
	v_add_nc_u32_e32 v0, v6, v1
	s_delay_alu instid0(VALU_DEP_1) | instskip(NEXT) | instid1(VALU_DEP_1)
	v_lshrrev_b32_e32 v0, s30, v0
	v_mul_lo_u32 v0, v0, s28
	s_delay_alu instid0(VALU_DEP_1) | instskip(NEXT) | instid1(VALU_DEP_1)
	v_sub_nc_u32_e32 v0, v6, v0
	v_mad_u32 v2, v0, s27, v2
	v_mad_u32 v4, v0, s34, v4
	;; [unrolled: 1-line block ×3, first 2 shown]
.LBB9_86:
	global_load_b64 v[0:1], v3, s[8:9]
	v_mov_b64_e32 v[6:7], 0
	s_mov_b32 s1, exec_lo
	s_wait_loadcnt 0x0
	v_cmpx_lt_i64_e64 s[10:11], v[0:1]
	s_cbranch_execz .LBB9_92
; %bb.87:
	v_sub_nc_u64_e64 v[10:11], v[0:1], s[10:11]
                                        ; implicit-def: $vgpr6_vgpr7
	s_mov_b32 s0, exec_lo
	s_delay_alu instid0(VALU_DEP_1) | instskip(NEXT) | instid1(VALU_DEP_1)
	v_dual_mov_b32 v8, 0 :: v_dual_bitop2_b32 v9, s13, v11 bitop3:0x54
	v_cmpx_ne_u64_e32 0, v[8:9]
	s_xor_b32 s20, exec_lo, s0
	s_cbranch_execz .LBB9_89
; %bb.88:
	s_ashr_i32 s8, s13, 31
	s_mov_b32 s29, 0
	s_mov_b32 s9, s8
	v_dual_mov_b32 v13, v8 :: v_dual_ashrrev_i32 v6, 31, v11
	s_add_nc_u64 s[14:15], s[12:13], s[8:9]
	v_mov_b32_e32 v15, v8
	s_xor_b64 s[14:15], s[14:15], s[8:9]
	s_delay_alu instid0(VALU_DEP_2)
	v_mov_b32_e32 v7, v6
	s_cvt_f32_u32 s0, s14
	s_cvt_f32_u32 s9, s15
	s_sub_nc_u64 s[24:25], 0, s[14:15]
	v_mov_b32_e32 v21, v8
	v_add_nc_u64_e32 v[10:11], v[10:11], v[6:7]
	s_fmamk_f32 s0, s9, 0x4f800000, s0
	v_mov_b32_e32 v9, v8
	s_delay_alu instid0(SALU_CYCLE_2) | instskip(NEXT) | instid1(VALU_DEP_2)
	v_s_rcp_f32 s0, s0
	v_xor_b32_e32 v12, v10, v6
	s_delay_alu instid0(VALU_DEP_3) | instskip(SKIP_1) | instid1(TRANS32_DEP_1)
	v_xor_b32_e32 v14, v11, v6
	v_xor_b32_e32 v6, s8, v6
	s_mul_f32 s0, s0, 0x5f7ffffc
	s_delay_alu instid0(SALU_CYCLE_3) | instskip(NEXT) | instid1(SALU_CYCLE_3)
	s_mul_f32 s9, s0, 0x2f800000
	s_trunc_f32 s9, s9
	s_delay_alu instid0(SALU_CYCLE_3) | instskip(SKIP_1) | instid1(SALU_CYCLE_2)
	s_fmamk_f32 s0, s9, 0xcf800000, s0
	s_cvt_u32_f32 s23, s9
	s_cvt_u32_f32 s22, s0
	s_delay_alu instid0(SALU_CYCLE_3) | instskip(NEXT) | instid1(SALU_CYCLE_1)
	s_mul_u64 s[26:27], s[24:25], s[22:23]
	s_mul_hi_u32 s31, s22, s27
	s_mul_i32 s30, s22, s27
	s_mul_hi_u32 s28, s22, s26
	s_mul_i32 s9, s23, s26
	s_add_nc_u64 s[30:31], s[28:29], s[30:31]
	s_mul_hi_u32 s0, s23, s26
	s_mul_hi_u32 s21, s23, s27
	s_add_co_u32 s9, s30, s9
	s_add_co_ci_u32 s28, s31, s0
	s_mul_i32 s26, s23, s27
	s_add_co_ci_u32 s27, s21, 0
	s_delay_alu instid0(SALU_CYCLE_1) | instskip(NEXT) | instid1(SALU_CYCLE_1)
	s_add_nc_u64 s[26:27], s[28:29], s[26:27]
	s_add_co_u32 s22, s22, s26
	s_cselect_b32 s0, -1, 0
	s_delay_alu instid0(SALU_CYCLE_1) | instskip(SKIP_1) | instid1(SALU_CYCLE_1)
	s_cmp_lg_u32 s0, 0
	s_add_co_ci_u32 s23, s23, s27
	s_mul_u64 s[24:25], s[24:25], s[22:23]
	s_delay_alu instid0(SALU_CYCLE_1)
	s_mul_hi_u32 s27, s22, s25
	s_mul_i32 s26, s22, s25
	s_mul_hi_u32 s28, s22, s24
	s_mul_i32 s9, s23, s24
	s_add_nc_u64 s[26:27], s[28:29], s[26:27]
	s_mul_hi_u32 s0, s23, s24
	s_mul_hi_u32 s21, s23, s25
	s_add_co_u32 s9, s26, s9
	s_add_co_ci_u32 s28, s27, s0
	s_mul_i32 s24, s23, s25
	s_add_co_ci_u32 s25, s21, 0
	s_delay_alu instid0(SALU_CYCLE_1) | instskip(NEXT) | instid1(SALU_CYCLE_1)
	s_add_nc_u64 s[24:25], s[28:29], s[24:25]
	s_add_co_u32 s0, s22, s24
	s_cselect_b32 s9, -1, 0
	v_mul_hi_u32 v20, v12, s0
	s_cmp_lg_u32 s9, 0
	s_add_co_ci_u32 s28, s23, s25
	s_mov_b64 s[22:23], 0xffffffff
	v_mul_u64_e32 v[16:17], s[28:29], v[12:13]
	s_and_b64 s[22:23], s[0:1], s[22:23]
	v_mul_u64_e32 v[18:19], s[28:29], v[14:15]
	v_mul_u64_e32 v[10:11], s[22:23], v[14:15]
	s_delay_alu instid0(VALU_DEP_3) | instskip(NEXT) | instid1(VALU_DEP_1)
	v_add_nc_u64_e32 v[16:17], v[20:21], v[16:17]
	v_add_co_u32 v3, vcc_lo, v16, v10
	s_delay_alu instid0(VALU_DEP_2) | instskip(SKIP_1) | instid1(VALU_DEP_1)
	v_add_co_ci_u32_e32 v8, vcc_lo, v17, v11, vcc_lo
	v_add_co_ci_u32_e32 v19, vcc_lo, 0, v19, vcc_lo
	v_add_nc_u64_e32 v[8:9], v[8:9], v[18:19]
	s_delay_alu instid0(VALU_DEP_1) | instskip(NEXT) | instid1(VALU_DEP_1)
	v_mul_u64_e32 v[10:11], s[14:15], v[8:9]
	v_sub_nc_u32_e32 v3, v14, v11
	s_delay_alu instid0(VALU_DEP_2) | instskip(NEXT) | instid1(VALU_DEP_1)
	v_sub_co_u32 v5, vcc_lo, v12, v10
	v_sub_co_ci_u32_e64 v14, null, v14, v11, vcc_lo
	s_delay_alu instid0(VALU_DEP_3) | instskip(NEXT) | instid1(VALU_DEP_3)
	v_subrev_co_ci_u32_e64 v3, null, s15, v3, vcc_lo
	v_sub_co_u32 v7, s0, v5, s14
	v_add_nc_u64_e32 v[12:13], 1, v[8:9]
	s_delay_alu instid0(VALU_DEP_3) | instskip(NEXT) | instid1(VALU_DEP_3)
	v_subrev_co_ci_u32_e64 v3, null, 0, v3, s0
	v_cmp_le_u32_e32 vcc_lo, s14, v7
	v_cndmask_b32_e64 v7, 0, -1, vcc_lo
	s_delay_alu instid0(VALU_DEP_3)
	v_cmp_le_u32_e32 vcc_lo, s15, v3
	v_cndmask_b32_e64 v10, 0, -1, vcc_lo
	v_cmp_le_u32_e32 vcc_lo, s14, v5
	v_cndmask_b32_e64 v5, 0, -1, vcc_lo
	;; [unrolled: 2-line block ×3, first 2 shown]
	v_cmp_eq_u32_e32 vcc_lo, s15, v3
	v_cndmask_b32_e32 v3, v10, v7, vcc_lo
	v_cmp_eq_u32_e32 vcc_lo, s15, v14
	v_add_nc_u64_e32 v[10:11], 2, v[8:9]
	v_cndmask_b32_e32 v5, v15, v5, vcc_lo
	s_delay_alu instid0(VALU_DEP_4) | instskip(NEXT) | instid1(VALU_DEP_2)
	v_cmp_ne_u32_e32 vcc_lo, 0, v3
	v_cmp_ne_u32_e64 s0, 0, v5
	s_delay_alu instid0(VALU_DEP_4) | instskip(NEXT) | instid1(VALU_DEP_1)
	v_dual_cndmask_b32 v3, v13, v11, vcc_lo :: v_dual_cndmask_b32 v5, v12, v10, vcc_lo
                                        ; implicit-def: $vgpr10_vgpr11
	v_dual_cndmask_b32 v3, v9, v3, s0 :: v_dual_cndmask_b32 v5, v8, v5, s0
	s_delay_alu instid0(VALU_DEP_1) | instskip(NEXT) | instid1(VALU_DEP_2)
	v_dual_mov_b32 v7, v6 :: v_dual_bitop2_b32 v9, v3, v6 bitop3:0x14
	v_xor_b32_e32 v8, v5, v6
	s_delay_alu instid0(VALU_DEP_1)
	v_sub_nc_u64_e32 v[6:7], v[8:9], v[6:7]
.LBB9_89:
	s_and_not1_saveexec_b32 s0, s20
	s_cbranch_execz .LBB9_91
; %bb.90:
	v_cvt_f32_u32_e32 v3, s12
	s_sub_co_i32 s8, 0, s12
	s_delay_alu instid0(VALU_DEP_1) | instskip(SKIP_1) | instid1(TRANS32_DEP_1)
	v_rcp_iflag_f32_e32 v3, v3
	v_nop
	v_mul_f32_e32 v3, 0x4f7ffffe, v3
	s_delay_alu instid0(VALU_DEP_1) | instskip(NEXT) | instid1(VALU_DEP_1)
	v_cvt_u32_f32_e32 v3, v3
	v_mul_lo_u32 v5, s8, v3
	s_delay_alu instid0(VALU_DEP_1) | instskip(NEXT) | instid1(VALU_DEP_1)
	v_mul_hi_u32 v5, v3, v5
	v_add_nc_u32_e32 v3, v3, v5
	s_delay_alu instid0(VALU_DEP_1) | instskip(NEXT) | instid1(VALU_DEP_1)
	v_mul_hi_u32 v3, v10, v3
	v_mul_lo_u32 v5, v3, s12
	s_delay_alu instid0(VALU_DEP_1) | instskip(NEXT) | instid1(VALU_DEP_1)
	v_dual_add_nc_u32 v6, 1, v3 :: v_dual_sub_nc_u32 v5, v10, v5
	v_subrev_nc_u32_e32 v7, s12, v5
	v_cmp_le_u32_e32 vcc_lo, s12, v5
	s_delay_alu instid0(VALU_DEP_2) | instskip(NEXT) | instid1(VALU_DEP_4)
	v_dual_cndmask_b32 v5, v5, v7, vcc_lo :: v_dual_mov_b32 v7, 0
	v_cndmask_b32_e32 v3, v3, v6, vcc_lo
	s_delay_alu instid0(VALU_DEP_2) | instskip(NEXT) | instid1(VALU_DEP_2)
	v_cmp_le_u32_e32 vcc_lo, s12, v5
	v_add_nc_u32_e32 v6, 1, v3
	s_delay_alu instid0(VALU_DEP_1)
	v_cndmask_b32_e32 v6, v3, v6, vcc_lo
.LBB9_91:
	s_or_b32 exec_lo, exec_lo, s0
.LBB9_92:
	s_delay_alu instid0(SALU_CYCLE_1) | instskip(SKIP_2) | instid1(VALU_DEP_1)
	s_or_b32 exec_lo, exec_lo, s1
	v_dual_mov_b32 v8, 0 :: v_dual_bitop2_b32 v9, s13, v1 bitop3:0x54
                                        ; implicit-def: $vgpr10_vgpr11
	s_mov_b32 s0, exec_lo
	v_cmpx_ne_u64_e32 0, v[8:9]
	s_xor_b32 s1, exec_lo, s0
	s_cbranch_execz .LBB9_94
; %bb.93:
	s_ashr_i32 s8, s13, 31
	s_mov_b32 s27, 0
	s_mov_b32 s9, s8
	v_dual_mov_b32 v15, v8 :: v_dual_ashrrev_i32 v10, 31, v1
	s_add_nc_u64 s[14:15], s[12:13], s[8:9]
	v_dual_mov_b32 v23, v8 :: v_dual_mov_b32 v9, v8
	s_xor_b64 s[14:15], s[14:15], s[8:9]
	s_delay_alu instid0(VALU_DEP_2) | instskip(SKIP_3) | instid1(VALU_DEP_1)
	v_mov_b32_e32 v11, v10
	s_cvt_f32_u32 s0, s14
	s_cvt_f32_u32 s9, s15
	s_sub_nc_u64 s[22:23], 0, s[14:15]
	v_add_nc_u64_e32 v[12:13], v[0:1], v[10:11]
	s_delay_alu instid0(SALU_CYCLE_1) | instskip(SKIP_1) | instid1(SALU_CYCLE_2)
	s_fmamk_f32 s0, s9, 0x4f800000, s0
	v_mov_b32_e32 v17, v8
	v_s_rcp_f32 s0, s0
	s_delay_alu instid0(VALU_DEP_2) | instskip(NEXT) | instid1(VALU_DEP_3)
	v_xor_b32_e32 v14, v12, v10
	v_xor_b32_e32 v16, v13, v10
	v_xor_b32_e32 v10, s8, v10
	s_delay_alu instid0(TRANS32_DEP_1) | instskip(NEXT) | instid1(SALU_CYCLE_3)
	s_mul_f32 s0, s0, 0x5f7ffffc
	s_mul_f32 s9, s0, 0x2f800000
	s_delay_alu instid0(SALU_CYCLE_3) | instskip(NEXT) | instid1(SALU_CYCLE_3)
	s_trunc_f32 s9, s9
	s_fmamk_f32 s0, s9, 0xcf800000, s0
	s_cvt_u32_f32 s21, s9
	s_delay_alu instid0(SALU_CYCLE_2) | instskip(NEXT) | instid1(SALU_CYCLE_3)
	s_cvt_u32_f32 s20, s0
	s_mul_u64 s[24:25], s[22:23], s[20:21]
	s_delay_alu instid0(SALU_CYCLE_1)
	s_mul_hi_u32 s29, s20, s25
	s_mul_i32 s28, s20, s25
	s_mul_hi_u32 s26, s20, s24
	s_mul_i32 s9, s21, s24
	s_add_nc_u64 s[28:29], s[26:27], s[28:29]
	s_mul_hi_u32 s0, s21, s24
	s_mul_hi_u32 s30, s21, s25
	s_add_co_u32 s9, s28, s9
	s_add_co_ci_u32 s26, s29, s0
	s_mul_i32 s24, s21, s25
	s_add_co_ci_u32 s25, s30, 0
	s_delay_alu instid0(SALU_CYCLE_1) | instskip(NEXT) | instid1(SALU_CYCLE_1)
	s_add_nc_u64 s[24:25], s[26:27], s[24:25]
	s_add_co_u32 s20, s20, s24
	s_cselect_b32 s0, -1, 0
	s_delay_alu instid0(SALU_CYCLE_1) | instskip(SKIP_1) | instid1(SALU_CYCLE_1)
	s_cmp_lg_u32 s0, 0
	s_add_co_ci_u32 s21, s21, s25
	s_mul_u64 s[22:23], s[22:23], s[20:21]
	s_delay_alu instid0(SALU_CYCLE_1)
	s_mul_hi_u32 s25, s20, s23
	s_mul_i32 s24, s20, s23
	s_mul_hi_u32 s26, s20, s22
	s_mul_i32 s9, s21, s22
	s_add_nc_u64 s[24:25], s[26:27], s[24:25]
	s_mul_hi_u32 s0, s21, s22
	s_mul_hi_u32 s28, s21, s23
	s_add_co_u32 s9, s24, s9
	s_add_co_ci_u32 s26, s25, s0
	s_mul_i32 s22, s21, s23
	s_add_co_ci_u32 s23, s28, 0
	s_delay_alu instid0(SALU_CYCLE_1) | instskip(NEXT) | instid1(SALU_CYCLE_1)
	s_add_nc_u64 s[22:23], s[26:27], s[22:23]
	s_add_co_u32 s0, s20, s22
	s_cselect_b32 s9, -1, 0
	v_mul_hi_u32 v22, v14, s0
	s_cmp_lg_u32 s9, 0
	s_add_co_ci_u32 s26, s21, s23
	s_mov_b64 s[20:21], 0xffffffff
	v_mul_u64_e32 v[18:19], s[26:27], v[14:15]
	s_and_b64 s[20:21], s[0:1], s[20:21]
	v_mul_u64_e32 v[20:21], s[26:27], v[16:17]
	v_mul_u64_e32 v[12:13], s[20:21], v[16:17]
	s_delay_alu instid0(VALU_DEP_3) | instskip(NEXT) | instid1(VALU_DEP_1)
	v_add_nc_u64_e32 v[18:19], v[22:23], v[18:19]
	v_add_co_u32 v3, vcc_lo, v18, v12
	s_delay_alu instid0(VALU_DEP_2) | instskip(SKIP_1) | instid1(VALU_DEP_1)
	v_add_co_ci_u32_e32 v8, vcc_lo, v19, v13, vcc_lo
	v_add_co_ci_u32_e32 v21, vcc_lo, 0, v21, vcc_lo
	v_add_nc_u64_e32 v[8:9], v[8:9], v[20:21]
	s_delay_alu instid0(VALU_DEP_1) | instskip(NEXT) | instid1(VALU_DEP_1)
	v_mul_u64_e32 v[12:13], s[14:15], v[8:9]
	v_sub_co_u32 v5, vcc_lo, v14, v12
	v_add_nc_u64_e32 v[14:15], 1, v[8:9]
	s_delay_alu instid0(VALU_DEP_3) | instskip(SKIP_1) | instid1(VALU_DEP_4)
	v_sub_nc_u32_e32 v3, v16, v13
	v_sub_co_ci_u32_e64 v16, null, v16, v13, vcc_lo
	v_sub_co_u32 v11, s0, v5, s14
	s_delay_alu instid0(VALU_DEP_3) | instskip(NEXT) | instid1(VALU_DEP_2)
	v_subrev_co_ci_u32_e64 v3, null, s15, v3, vcc_lo
	v_cmp_le_u32_e32 vcc_lo, s14, v11
	s_delay_alu instid0(VALU_DEP_2) | instskip(SKIP_1) | instid1(VALU_DEP_2)
	v_subrev_co_ci_u32_e64 v3, null, 0, v3, s0
	v_cndmask_b32_e64 v11, 0, -1, vcc_lo
	v_cmp_le_u32_e32 vcc_lo, s15, v3
	v_cndmask_b32_e64 v12, 0, -1, vcc_lo
	v_cmp_le_u32_e32 vcc_lo, s14, v5
	;; [unrolled: 2-line block ×3, first 2 shown]
	v_cndmask_b32_e64 v17, 0, -1, vcc_lo
	v_cmp_eq_u32_e32 vcc_lo, s15, v3
	v_cndmask_b32_e32 v3, v12, v11, vcc_lo
	v_cmp_eq_u32_e32 vcc_lo, s15, v16
	v_add_nc_u64_e32 v[12:13], 2, v[8:9]
	v_cndmask_b32_e32 v5, v17, v5, vcc_lo
	s_delay_alu instid0(VALU_DEP_4) | instskip(NEXT) | instid1(VALU_DEP_2)
	v_cmp_ne_u32_e32 vcc_lo, 0, v3
	v_cmp_ne_u32_e64 s0, 0, v5
	s_delay_alu instid0(VALU_DEP_4) | instskip(NEXT) | instid1(VALU_DEP_1)
	v_dual_cndmask_b32 v3, v15, v13, vcc_lo :: v_dual_cndmask_b32 v5, v14, v12, vcc_lo
	v_dual_cndmask_b32 v3, v9, v3, s0 :: v_dual_cndmask_b32 v5, v8, v5, s0
	s_delay_alu instid0(VALU_DEP_1) | instskip(NEXT) | instid1(VALU_DEP_2)
	v_dual_mov_b32 v11, v10 :: v_dual_bitop2_b32 v9, v3, v10 bitop3:0x14
	v_xor_b32_e32 v8, v5, v10
	s_delay_alu instid0(VALU_DEP_1)
	v_sub_nc_u64_e32 v[10:11], v[8:9], v[10:11]
.LBB9_94:
	s_and_not1_saveexec_b32 s0, s1
	s_cbranch_execz .LBB9_96
; %bb.95:
	v_cvt_f32_u32_e32 v3, s12
	s_sub_co_i32 s1, 0, s12
	v_mov_b32_e32 v11, 0
	s_delay_alu instid0(VALU_DEP_2) | instskip(SKIP_1) | instid1(TRANS32_DEP_1)
	v_rcp_iflag_f32_e32 v3, v3
	v_nop
	v_mul_f32_e32 v3, 0x4f7ffffe, v3
	s_delay_alu instid0(VALU_DEP_1) | instskip(NEXT) | instid1(VALU_DEP_1)
	v_cvt_u32_f32_e32 v3, v3
	v_mul_lo_u32 v5, s1, v3
	s_delay_alu instid0(VALU_DEP_1) | instskip(NEXT) | instid1(VALU_DEP_1)
	v_mul_hi_u32 v5, v3, v5
	v_add_nc_u32_e32 v3, v3, v5
	s_delay_alu instid0(VALU_DEP_1) | instskip(NEXT) | instid1(VALU_DEP_1)
	v_mul_hi_u32 v3, v0, v3
	v_mul_lo_u32 v5, v3, s12
	s_delay_alu instid0(VALU_DEP_1) | instskip(NEXT) | instid1(VALU_DEP_1)
	v_sub_nc_u32_e32 v5, v0, v5
	v_subrev_nc_u32_e32 v9, s12, v5
	v_cmp_le_u32_e32 vcc_lo, s12, v5
	s_delay_alu instid0(VALU_DEP_2) | instskip(NEXT) | instid1(VALU_DEP_1)
	v_dual_cndmask_b32 v5, v5, v9 :: v_dual_add_nc_u32 v8, 1, v3
	v_cndmask_b32_e32 v3, v3, v8, vcc_lo
	s_delay_alu instid0(VALU_DEP_2) | instskip(NEXT) | instid1(VALU_DEP_2)
	v_cmp_le_u32_e32 vcc_lo, s12, v5
	v_add_nc_u32_e32 v8, 1, v3
	s_delay_alu instid0(VALU_DEP_1)
	v_cndmask_b32_e32 v10, v3, v8, vcc_lo
.LBB9_96:
	s_or_b32 exec_lo, exec_lo, s0
	v_mul_u64_e32 v[12:13], s[12:13], v[6:7]
	s_delay_alu instid0(VALU_DEP_2) | instskip(SKIP_1) | instid1(VALU_DEP_2)
	v_min_i64 v[8:9], v[10:11], s[2:3]
	s_mov_b32 s2, 0
	v_add_nc_u64_e32 v[10:11], s[10:11], v[12:13]
	v_cmp_gt_i64_e32 vcc_lo, v[12:13], v[0:1]
	s_delay_alu instid0(VALU_DEP_2) | instskip(SKIP_2) | instid1(SALU_CYCLE_1)
	v_cmp_ge_i64_e64 s0, v[0:1], v[10:11]
	v_mov_b32_e32 v11, s2
	s_or_b32 s0, vcc_lo, s0
	v_cndmask_b32_e64 v10, 0, 1, s0
	s_delay_alu instid0(VALU_DEP_1) | instskip(NEXT) | instid1(VALU_DEP_1)
	v_add_nc_u64_e32 v[6:7], v[6:7], v[10:11]
	v_cmp_le_i64_e32 vcc_lo, v[6:7], v[8:9]
	s_and_b32 exec_lo, exec_lo, vcc_lo
	s_cbranch_execz .LBB9_99
; %bb.97:
	global_load_u16 v10, v2, s[4:5]
	v_mul_u64_e32 v[12:13], s[12:13], v[6:7]
	v_mov_b32_e32 v3, 0
	s_mul_u64 s[0:1], s[12:13], s[18:19]
	s_delay_alu instid0(SALU_CYCLE_1) | instskip(NEXT) | instid1(VALU_DEP_1)
	s_lshl_b64 s[0:1], s[0:1], 1
	v_mov_b32_e32 v5, v3
	s_delay_alu instid0(VALU_DEP_3) | instskip(SKIP_1) | instid1(VALU_DEP_2)
	v_sub_nc_u64_e32 v[0:1], v[0:1], v[12:13]
	v_mul_u64_e32 v[12:13], s[16:17], v[6:7]
	v_mul_u64_e32 v[0:1], s[18:19], v[0:1]
	s_delay_alu instid0(VALU_DEP_2) | instskip(NEXT) | instid1(VALU_DEP_1)
	v_lshlrev_b64_e32 v[12:13], 1, v[12:13]
	v_lshl_add_u64 v[0:1], v[0:1], 1, v[12:13]
	s_delay_alu instid0(VALU_DEP_1) | instskip(SKIP_4) | instid1(SALU_CYCLE_1)
	v_add_nc_u64_e32 v[4:5], v[0:1], v[4:5]
	v_add_nc_u64_e32 v[0:1], s[4:5], v[2:3]
	s_wait_xcnt 0x0
	v_add_nc_u64_e32 v[2:3], -1, v[6:7]
	s_lshl_b64 s[4:5], s[16:17], 1
	s_sub_nc_u64 s[0:1], s[4:5], s[0:1]
	s_delay_alu instid0(VALU_DEP_3)
	v_add_nc_u64_e32 v[4:5], s[6:7], v[4:5]
.LBB9_98:                               ; =>This Inner Loop Header: Depth=1
	global_load_u16 v6, v[4:5], off
	v_add_nc_u64_e32 v[2:3], 1, v[2:3]
	s_wait_xcnt 0x0
	v_add_nc_u64_e32 v[4:5], s[0:1], v[4:5]
	s_delay_alu instid0(VALU_DEP_2)
	v_cmp_ge_i64_e32 vcc_lo, v[2:3], v[8:9]
	s_or_b32 s2, vcc_lo, s2
	s_wait_loadcnt 0x0
	v_add_f16_e32 v10, v10, v6
	global_store_b16 v[0:1], v10, off
	s_wait_xcnt 0x0
	s_and_not1_b32 exec_lo, exec_lo, s2
	s_cbranch_execnz .LBB9_98
.LBB9_99:
	s_endpgm
	.section	.rodata,"a",@progbits
	.p2align	6, 0x0
	.amdhsa_kernel _ZN2at6native12_GLOBAL__N_135_unfold_backward_elementwise_kernelILi256ELi4EZNS1_32_unfold_backward_internal_kernelIN3c104HalfEEEvRNS_14TensorIteratorEllllllEUliE_EEviT1_
		.amdhsa_group_segment_fixed_size 0
		.amdhsa_private_segment_fixed_size 0
		.amdhsa_kernarg_size 464
		.amdhsa_user_sgpr_count 2
		.amdhsa_user_sgpr_dispatch_ptr 0
		.amdhsa_user_sgpr_queue_ptr 0
		.amdhsa_user_sgpr_kernarg_segment_ptr 1
		.amdhsa_user_sgpr_dispatch_id 0
		.amdhsa_user_sgpr_kernarg_preload_length 0
		.amdhsa_user_sgpr_kernarg_preload_offset 0
		.amdhsa_user_sgpr_private_segment_size 0
		.amdhsa_wavefront_size32 1
		.amdhsa_uses_dynamic_stack 0
		.amdhsa_enable_private_segment 0
		.amdhsa_system_sgpr_workgroup_id_x 1
		.amdhsa_system_sgpr_workgroup_id_y 0
		.amdhsa_system_sgpr_workgroup_id_z 0
		.amdhsa_system_sgpr_workgroup_info 0
		.amdhsa_system_vgpr_workitem_id 0
		.amdhsa_next_free_vgpr 28
		.amdhsa_next_free_sgpr 56
		.amdhsa_named_barrier_count 0
		.amdhsa_reserve_vcc 1
		.amdhsa_float_round_mode_32 0
		.amdhsa_float_round_mode_16_64 0
		.amdhsa_float_denorm_mode_32 3
		.amdhsa_float_denorm_mode_16_64 3
		.amdhsa_fp16_overflow 0
		.amdhsa_memory_ordered 1
		.amdhsa_forward_progress 1
		.amdhsa_inst_pref_size 76
		.amdhsa_round_robin_scheduling 0
		.amdhsa_exception_fp_ieee_invalid_op 0
		.amdhsa_exception_fp_denorm_src 0
		.amdhsa_exception_fp_ieee_div_zero 0
		.amdhsa_exception_fp_ieee_overflow 0
		.amdhsa_exception_fp_ieee_underflow 0
		.amdhsa_exception_fp_ieee_inexact 0
		.amdhsa_exception_int_div_zero 0
	.end_amdhsa_kernel
	.section	.text._ZN2at6native12_GLOBAL__N_135_unfold_backward_elementwise_kernelILi256ELi4EZNS1_32_unfold_backward_internal_kernelIN3c104HalfEEEvRNS_14TensorIteratorEllllllEUliE_EEviT1_,"axG",@progbits,_ZN2at6native12_GLOBAL__N_135_unfold_backward_elementwise_kernelILi256ELi4EZNS1_32_unfold_backward_internal_kernelIN3c104HalfEEEvRNS_14TensorIteratorEllllllEUliE_EEviT1_,comdat
.Lfunc_end9:
	.size	_ZN2at6native12_GLOBAL__N_135_unfold_backward_elementwise_kernelILi256ELi4EZNS1_32_unfold_backward_internal_kernelIN3c104HalfEEEvRNS_14TensorIteratorEllllllEUliE_EEviT1_, .Lfunc_end9-_ZN2at6native12_GLOBAL__N_135_unfold_backward_elementwise_kernelILi256ELi4EZNS1_32_unfold_backward_internal_kernelIN3c104HalfEEEvRNS_14TensorIteratorEllllllEUliE_EEviT1_
                                        ; -- End function
	.set _ZN2at6native12_GLOBAL__N_135_unfold_backward_elementwise_kernelILi256ELi4EZNS1_32_unfold_backward_internal_kernelIN3c104HalfEEEvRNS_14TensorIteratorEllllllEUliE_EEviT1_.num_vgpr, 28
	.set _ZN2at6native12_GLOBAL__N_135_unfold_backward_elementwise_kernelILi256ELi4EZNS1_32_unfold_backward_internal_kernelIN3c104HalfEEEvRNS_14TensorIteratorEllllllEUliE_EEviT1_.num_agpr, 0
	.set _ZN2at6native12_GLOBAL__N_135_unfold_backward_elementwise_kernelILi256ELi4EZNS1_32_unfold_backward_internal_kernelIN3c104HalfEEEvRNS_14TensorIteratorEllllllEUliE_EEviT1_.numbered_sgpr, 56
	.set _ZN2at6native12_GLOBAL__N_135_unfold_backward_elementwise_kernelILi256ELi4EZNS1_32_unfold_backward_internal_kernelIN3c104HalfEEEvRNS_14TensorIteratorEllllllEUliE_EEviT1_.num_named_barrier, 0
	.set _ZN2at6native12_GLOBAL__N_135_unfold_backward_elementwise_kernelILi256ELi4EZNS1_32_unfold_backward_internal_kernelIN3c104HalfEEEvRNS_14TensorIteratorEllllllEUliE_EEviT1_.private_seg_size, 0
	.set _ZN2at6native12_GLOBAL__N_135_unfold_backward_elementwise_kernelILi256ELi4EZNS1_32_unfold_backward_internal_kernelIN3c104HalfEEEvRNS_14TensorIteratorEllllllEUliE_EEviT1_.uses_vcc, 1
	.set _ZN2at6native12_GLOBAL__N_135_unfold_backward_elementwise_kernelILi256ELi4EZNS1_32_unfold_backward_internal_kernelIN3c104HalfEEEvRNS_14TensorIteratorEllllllEUliE_EEviT1_.uses_flat_scratch, 0
	.set _ZN2at6native12_GLOBAL__N_135_unfold_backward_elementwise_kernelILi256ELi4EZNS1_32_unfold_backward_internal_kernelIN3c104HalfEEEvRNS_14TensorIteratorEllllllEUliE_EEviT1_.has_dyn_sized_stack, 0
	.set _ZN2at6native12_GLOBAL__N_135_unfold_backward_elementwise_kernelILi256ELi4EZNS1_32_unfold_backward_internal_kernelIN3c104HalfEEEvRNS_14TensorIteratorEllllllEUliE_EEviT1_.has_recursion, 0
	.set _ZN2at6native12_GLOBAL__N_135_unfold_backward_elementwise_kernelILi256ELi4EZNS1_32_unfold_backward_internal_kernelIN3c104HalfEEEvRNS_14TensorIteratorEllllllEUliE_EEviT1_.has_indirect_call, 0
	.section	.AMDGPU.csdata,"",@progbits
; Kernel info:
; codeLenInByte = 9716
; TotalNumSgprs: 58
; NumVgprs: 28
; ScratchSize: 0
; MemoryBound: 0
; FloatMode: 240
; IeeeMode: 1
; LDSByteSize: 0 bytes/workgroup (compile time only)
; SGPRBlocks: 0
; VGPRBlocks: 1
; NumSGPRsForWavesPerEU: 58
; NumVGPRsForWavesPerEU: 28
; NamedBarCnt: 0
; Occupancy: 16
; WaveLimiterHint : 1
; COMPUTE_PGM_RSRC2:SCRATCH_EN: 0
; COMPUTE_PGM_RSRC2:USER_SGPR: 2
; COMPUTE_PGM_RSRC2:TRAP_HANDLER: 0
; COMPUTE_PGM_RSRC2:TGID_X_EN: 1
; COMPUTE_PGM_RSRC2:TGID_Y_EN: 0
; COMPUTE_PGM_RSRC2:TGID_Z_EN: 0
; COMPUTE_PGM_RSRC2:TIDIG_COMP_CNT: 0
	.section	.text._ZN2at6native12_GLOBAL__N_135_unfold_backward_elementwise_kernelILi256ELi4EZNS1_32_unfold_backward_internal_kernelIbEEvRNS_14TensorIteratorEllllllEUliE_EEviT1_,"axG",@progbits,_ZN2at6native12_GLOBAL__N_135_unfold_backward_elementwise_kernelILi256ELi4EZNS1_32_unfold_backward_internal_kernelIbEEvRNS_14TensorIteratorEllllllEUliE_EEviT1_,comdat
	.globl	_ZN2at6native12_GLOBAL__N_135_unfold_backward_elementwise_kernelILi256ELi4EZNS1_32_unfold_backward_internal_kernelIbEEvRNS_14TensorIteratorEllllllEUliE_EEviT1_ ; -- Begin function _ZN2at6native12_GLOBAL__N_135_unfold_backward_elementwise_kernelILi256ELi4EZNS1_32_unfold_backward_internal_kernelIbEEvRNS_14TensorIteratorEllllllEUliE_EEviT1_
	.p2align	8
	.type	_ZN2at6native12_GLOBAL__N_135_unfold_backward_elementwise_kernelILi256ELi4EZNS1_32_unfold_backward_internal_kernelIbEEvRNS_14TensorIteratorEllllllEUliE_EEviT1_,@function
_ZN2at6native12_GLOBAL__N_135_unfold_backward_elementwise_kernelILi256ELi4EZNS1_32_unfold_backward_internal_kernelIbEEvRNS_14TensorIteratorEllllllEUliE_EEviT1_: ; @_ZN2at6native12_GLOBAL__N_135_unfold_backward_elementwise_kernelILi256ELi4EZNS1_32_unfold_backward_internal_kernelIbEEvRNS_14TensorIteratorEllllllEUliE_EEviT1_
; %bb.0:
	s_clause 0x2
	s_load_b128 s[20:23], s[0:1], 0x8
	s_load_b32 s31, s[0:1], 0x0
	s_load_b512 s[4:19], s[0:1], 0x190
	s_bfe_u32 s3, ttmp6, 0x4000c
	s_clause 0x2
	s_load_b96 s[28:30], s[0:1], 0x18
	s_load_b128 s[24:27], s[0:1], 0xcc
	s_load_b64 s[34:35], s[0:1], 0xdc
	s_add_co_i32 s3, s3, 1
	s_and_b32 s2, ttmp6, 15
	s_mul_i32 s3, ttmp9, s3
	s_getreg_b32 s33, hwreg(HW_REG_IB_STS2, 6, 4)
	s_add_co_i32 s2, s2, s3
	s_add_nc_u64 s[40:41], s[0:1], 8
	s_cmp_eq_u32 s33, 0
	s_mov_b32 s37, 0
	s_cselect_b32 s2, ttmp9, s2
	s_mov_b32 s42, -1
	v_lshl_or_b32 v0, s2, 10, v0
	s_mov_b32 s39, s37
	s_wait_kmcnt 0x0
	v_sub_co_u32 v1, s3, s20, 1
	s_mov_b32 s36, s22
	s_xor_b32 s33, s3, -1
	s_mov_b32 s38, s29
	v_readfirstlane_b32 s1, v1
	v_cmp_lt_u32_e32 vcc_lo, 1, v1
	s_add_nc_u64 s[2:3], s[14:15], -1
	s_mov_b32 s29, exec_lo
	s_min_u32 s22, s1, 15
	v_cndmask_b32_e64 v14, 0, 1, vcc_lo
	s_cmp_gt_u32 s20, 1
	s_cselect_b32 s20, -1, 0
	v_cmpx_gt_i32_e64 s31, v0
	s_cbranch_execnz .LBB10_4
; %bb.1:
	s_or_b32 exec_lo, exec_lo, s29
	s_delay_alu instid0(SALU_CYCLE_1)
	s_mov_b32 s29, exec_lo
	v_cmpx_gt_i32_e64 s31, v0
	s_cbranch_execnz .LBB10_28
.LBB10_2:
	s_or_b32 exec_lo, exec_lo, s29
	s_delay_alu instid0(SALU_CYCLE_1)
	s_mov_b32 s29, exec_lo
	v_cmpx_gt_i32_e64 s31, v0
	s_cbranch_execnz .LBB10_52
.LBB10_3:
	s_or_b32 exec_lo, exec_lo, s29
	s_delay_alu instid0(SALU_CYCLE_1)
	s_mov_b32 s0, exec_lo
	v_cmpx_gt_i32_e64 s31, v0
	s_cbranch_execnz .LBB10_76
	s_branch .LBB10_99
.LBB10_4:
	s_and_not1_b32 vcc_lo, exec_lo, vcc_lo
                                        ; implicit-def: $vgpr3
                                        ; implicit-def: $vgpr4
                                        ; implicit-def: $vgpr2
	s_cbranch_vccnz .LBB10_11
; %bb.5:
	v_dual_mov_b32 v3, 0 :: v_dual_mov_b32 v4, 0
	v_mov_b32_e32 v2, 0
	s_and_not1_b32 vcc_lo, exec_lo, s33
	s_cbranch_vccnz .LBB10_10
; %bb.6:
	v_dual_mov_b32 v2, 0 :: v_dual_mov_b32 v1, v0
	v_dual_mov_b32 v4, 0 :: v_dual_mov_b32 v3, 0
	s_add_co_i32 s14, s22, 1
	s_mov_b64 s[0:1], 0xffffffffffffffe8
	s_and_b32 s14, s14, 30
	s_add_nc_u64 s[0:1], s[40:41], s[0:1]
.LBB10_7:                               ; =>This Inner Loop Header: Depth=1
	s_clause 0x1
	s_load_b128 s[44:47], s[0:1], 0x1c
	s_load_b64 s[42:43], s[0:1], 0x2c
	s_add_co_i32 s14, s14, -2
	s_delay_alu instid0(SALU_CYCLE_1) | instskip(SKIP_2) | instid1(VALU_DEP_1)
	s_cmp_lg_u32 s14, 0
	s_wait_kmcnt 0x0
	v_mul_hi_u32 v5, s45, v1
	v_add_nc_u32_e32 v5, v1, v5
	s_delay_alu instid0(VALU_DEP_1) | instskip(NEXT) | instid1(VALU_DEP_1)
	v_lshrrev_b32_e32 v5, s46, v5
	v_mul_hi_u32 v6, s42, v5
	v_mul_lo_u32 v7, v5, s44
	s_clause 0x1
	s_load_b128 s[48:51], s[0:1], 0xdc
	s_load_b64 s[44:45], s[0:1], 0xec
	s_wait_xcnt 0x0
	s_add_nc_u64 s[0:1], s[0:1], 24
	s_delay_alu instid0(VALU_DEP_2) | instskip(NEXT) | instid1(VALU_DEP_1)
	v_add_nc_u32_e32 v6, v5, v6
	v_dual_sub_nc_u32 v7, v1, v7 :: v_dual_lshrrev_b32 v1, s43, v6
	s_wait_kmcnt 0x0
	s_delay_alu instid0(VALU_DEP_1) | instskip(NEXT) | instid1(VALU_DEP_2)
	v_mad_u32 v2, v7, s48, v2
	v_mul_lo_u32 v6, v1, s47
	v_mad_u32 v3, v7, s50, v3
	v_mad_u32 v4, v7, s49, v4
	s_delay_alu instid0(VALU_DEP_3) | instskip(NEXT) | instid1(VALU_DEP_1)
	v_sub_nc_u32_e32 v5, v5, v6
	v_mad_u32 v2, v5, s51, v2
	s_delay_alu instid0(VALU_DEP_4) | instskip(NEXT) | instid1(VALU_DEP_4)
	v_mad_u32 v3, v5, s45, v3
	v_mad_u32 v4, v5, s44, v4
	s_cbranch_scc1 .LBB10_7
; %bb.8:
	s_bitcmp1_b32 s22, 0
	s_cselect_b32 s14, -1, 0
	s_delay_alu instid0(SALU_CYCLE_1)
	s_and_b32 vcc_lo, exec_lo, s14
	s_cbranch_vccnz .LBB10_10
; %bb.9:
	s_clause 0x1
	s_load_b96 s[44:46], s[0:1], 0x1c
	s_load_b96 s[48:50], s[0:1], 0xdc
	s_wait_kmcnt 0x0
	v_mul_hi_u32 v5, s45, v1
	s_delay_alu instid0(VALU_DEP_1) | instskip(NEXT) | instid1(VALU_DEP_1)
	v_add_nc_u32_e32 v5, v1, v5
	v_lshrrev_b32_e32 v5, s46, v5
	s_delay_alu instid0(VALU_DEP_1) | instskip(NEXT) | instid1(VALU_DEP_1)
	v_mul_lo_u32 v5, v5, s44
	v_sub_nc_u32_e32 v1, v1, v5
	s_delay_alu instid0(VALU_DEP_1)
	v_mad_u32 v2, v1, s48, v2
	v_mad_u32 v4, v1, s49, v4
	;; [unrolled: 1-line block ×3, first 2 shown]
.LBB10_10:
	s_mov_b32 s42, 0
.LBB10_11:
	s_delay_alu instid0(SALU_CYCLE_1)
	s_and_not1_b32 vcc_lo, exec_lo, s42
	s_cbranch_vccnz .LBB10_14
; %bb.12:
	v_mov_b32_e32 v1, 0
	s_and_not1_b32 vcc_lo, exec_lo, s20
	s_delay_alu instid0(VALU_DEP_1) | instskip(NEXT) | instid1(VALU_DEP_1)
	v_mul_u64_e32 v[2:3], s[36:37], v[0:1]
	v_add_nc_u32_e32 v2, v0, v3
	s_delay_alu instid0(VALU_DEP_1) | instskip(NEXT) | instid1(VALU_DEP_1)
	v_lshrrev_b32_e32 v6, s23, v2
	v_mul_lo_u32 v2, v6, s21
	s_delay_alu instid0(VALU_DEP_1) | instskip(NEXT) | instid1(VALU_DEP_1)
	v_sub_nc_u32_e32 v4, v0, v2
	v_mul_lo_u32 v2, v4, s24
	v_mul_lo_u32 v3, v4, s26
	;; [unrolled: 1-line block ×3, first 2 shown]
	s_cbranch_vccnz .LBB10_14
; %bb.13:
	v_mov_b32_e32 v7, v1
	s_delay_alu instid0(VALU_DEP_1) | instskip(NEXT) | instid1(VALU_DEP_1)
	v_mul_u64_e32 v[8:9], s[38:39], v[6:7]
	v_add_nc_u32_e32 v1, v6, v9
	s_delay_alu instid0(VALU_DEP_1) | instskip(NEXT) | instid1(VALU_DEP_1)
	v_lshrrev_b32_e32 v1, s30, v1
	v_mul_lo_u32 v1, v1, s28
	s_delay_alu instid0(VALU_DEP_1) | instskip(NEXT) | instid1(VALU_DEP_1)
	v_sub_nc_u32_e32 v1, v6, v1
	v_mad_u32 v2, v1, s27, v2
	v_mad_u32 v4, v1, s34, v4
	;; [unrolled: 1-line block ×3, first 2 shown]
.LBB10_14:
	global_load_b64 v[6:7], v3, s[8:9]
	v_mov_b64_e32 v[8:9], 0
	s_mov_b32 s1, exec_lo
	s_wait_loadcnt 0x0
	v_cmpx_lt_i64_e64 s[10:11], v[6:7]
	s_cbranch_execz .LBB10_20
; %bb.15:
	v_sub_nc_u64_e64 v[12:13], v[6:7], s[10:11]
                                        ; implicit-def: $vgpr8_vgpr9
	s_mov_b32 s0, exec_lo
	s_delay_alu instid0(VALU_DEP_1) | instskip(NEXT) | instid1(VALU_DEP_1)
	v_dual_mov_b32 v10, 0 :: v_dual_bitop2_b32 v11, s13, v13 bitop3:0x54
	v_cmpx_ne_u64_e32 0, v[10:11]
	s_xor_b32 s44, exec_lo, s0
	s_cbranch_execz .LBB10_17
; %bb.16:
	s_ashr_i32 s14, s13, 31
	s_mov_b32 s53, 0
	s_mov_b32 s15, s14
	v_dual_mov_b32 v17, v10 :: v_dual_ashrrev_i32 v8, 31, v13
	s_add_nc_u64 s[42:43], s[12:13], s[14:15]
	v_mov_b32_e32 v19, v10
	s_xor_b64 s[42:43], s[42:43], s[14:15]
	s_delay_alu instid0(VALU_DEP_2)
	v_mov_b32_e32 v9, v8
	s_cvt_f32_u32 s0, s42
	s_cvt_f32_u32 s15, s43
	s_sub_nc_u64 s[48:49], 0, s[42:43]
	v_mov_b32_e32 v25, v10
	v_add_nc_u64_e32 v[12:13], v[12:13], v[8:9]
	s_fmamk_f32 s0, s15, 0x4f800000, s0
	v_mov_b32_e32 v11, v10
	s_delay_alu instid0(SALU_CYCLE_2) | instskip(NEXT) | instid1(VALU_DEP_2)
	v_s_rcp_f32 s0, s0
	v_xor_b32_e32 v16, v12, v8
	s_delay_alu instid0(VALU_DEP_3) | instskip(SKIP_1) | instid1(TRANS32_DEP_1)
	v_xor_b32_e32 v18, v13, v8
	v_xor_b32_e32 v8, s14, v8
	s_mul_f32 s0, s0, 0x5f7ffffc
	s_delay_alu instid0(SALU_CYCLE_3) | instskip(NEXT) | instid1(SALU_CYCLE_3)
	s_mul_f32 s15, s0, 0x2f800000
	s_trunc_f32 s15, s15
	s_delay_alu instid0(SALU_CYCLE_3) | instskip(SKIP_1) | instid1(SALU_CYCLE_2)
	s_fmamk_f32 s0, s15, 0xcf800000, s0
	s_cvt_u32_f32 s47, s15
	s_cvt_u32_f32 s46, s0
	s_delay_alu instid0(SALU_CYCLE_3) | instskip(NEXT) | instid1(SALU_CYCLE_1)
	s_mul_u64 s[50:51], s[48:49], s[46:47]
	s_mul_hi_u32 s55, s46, s51
	s_mul_i32 s54, s46, s51
	s_mul_hi_u32 s52, s46, s50
	s_mul_i32 s15, s47, s50
	s_add_nc_u64 s[54:55], s[52:53], s[54:55]
	s_mul_hi_u32 s0, s47, s50
	s_mul_hi_u32 s45, s47, s51
	s_add_co_u32 s15, s54, s15
	s_add_co_ci_u32 s52, s55, s0
	s_mul_i32 s50, s47, s51
	s_add_co_ci_u32 s51, s45, 0
	s_delay_alu instid0(SALU_CYCLE_1) | instskip(NEXT) | instid1(SALU_CYCLE_1)
	s_add_nc_u64 s[50:51], s[52:53], s[50:51]
	s_add_co_u32 s46, s46, s50
	s_cselect_b32 s0, -1, 0
	s_delay_alu instid0(SALU_CYCLE_1) | instskip(SKIP_1) | instid1(SALU_CYCLE_1)
	s_cmp_lg_u32 s0, 0
	s_add_co_ci_u32 s47, s47, s51
	s_mul_u64 s[48:49], s[48:49], s[46:47]
	s_delay_alu instid0(SALU_CYCLE_1)
	s_mul_hi_u32 s51, s46, s49
	s_mul_i32 s50, s46, s49
	s_mul_hi_u32 s52, s46, s48
	s_mul_i32 s15, s47, s48
	s_add_nc_u64 s[50:51], s[52:53], s[50:51]
	s_mul_hi_u32 s0, s47, s48
	s_mul_hi_u32 s45, s47, s49
	s_add_co_u32 s15, s50, s15
	s_add_co_ci_u32 s52, s51, s0
	s_mul_i32 s48, s47, s49
	s_add_co_ci_u32 s49, s45, 0
	s_delay_alu instid0(SALU_CYCLE_1) | instskip(NEXT) | instid1(SALU_CYCLE_1)
	s_add_nc_u64 s[48:49], s[52:53], s[48:49]
	s_add_co_u32 s0, s46, s48
	s_cselect_b32 s15, -1, 0
	v_mul_hi_u32 v24, v16, s0
	s_cmp_lg_u32 s15, 0
	s_add_co_ci_u32 s52, s47, s49
	s_mov_b64 s[46:47], 0xffffffff
	v_mul_u64_e32 v[20:21], s[52:53], v[16:17]
	s_and_b64 s[46:47], s[0:1], s[46:47]
	v_mul_u64_e32 v[22:23], s[52:53], v[18:19]
	v_mul_u64_e32 v[12:13], s[46:47], v[18:19]
	s_delay_alu instid0(VALU_DEP_3) | instskip(NEXT) | instid1(VALU_DEP_1)
	v_add_nc_u64_e32 v[20:21], v[24:25], v[20:21]
	v_add_co_u32 v1, vcc_lo, v20, v12
	s_delay_alu instid0(VALU_DEP_2) | instskip(SKIP_1) | instid1(VALU_DEP_1)
	v_add_co_ci_u32_e32 v10, vcc_lo, v21, v13, vcc_lo
	v_add_co_ci_u32_e32 v23, vcc_lo, 0, v23, vcc_lo
	v_add_nc_u64_e32 v[10:11], v[10:11], v[22:23]
	s_delay_alu instid0(VALU_DEP_1) | instskip(NEXT) | instid1(VALU_DEP_1)
	v_mul_u64_e32 v[12:13], s[42:43], v[10:11]
	v_sub_nc_u32_e32 v1, v18, v13
	s_delay_alu instid0(VALU_DEP_2) | instskip(NEXT) | instid1(VALU_DEP_1)
	v_sub_co_u32 v3, vcc_lo, v16, v12
	v_sub_co_ci_u32_e64 v9, null, v18, v13, vcc_lo
	s_delay_alu instid0(VALU_DEP_3) | instskip(NEXT) | instid1(VALU_DEP_3)
	v_subrev_co_ci_u32_e64 v1, null, s43, v1, vcc_lo
	v_sub_co_u32 v5, s0, v3, s42
	v_add_nc_u64_e32 v[16:17], 1, v[10:11]
	s_delay_alu instid0(VALU_DEP_3) | instskip(NEXT) | instid1(VALU_DEP_3)
	v_subrev_co_ci_u32_e64 v1, null, 0, v1, s0
	v_cmp_le_u32_e32 vcc_lo, s42, v5
	v_cndmask_b32_e64 v5, 0, -1, vcc_lo
	s_delay_alu instid0(VALU_DEP_3)
	v_cmp_le_u32_e32 vcc_lo, s43, v1
	v_cndmask_b32_e64 v12, 0, -1, vcc_lo
	v_cmp_le_u32_e32 vcc_lo, s42, v3
	v_cndmask_b32_e64 v3, 0, -1, vcc_lo
	;; [unrolled: 2-line block ×3, first 2 shown]
	v_cmp_eq_u32_e32 vcc_lo, s43, v1
	v_cndmask_b32_e32 v1, v12, v5, vcc_lo
	v_cmp_eq_u32_e32 vcc_lo, s43, v9
	v_add_nc_u64_e32 v[12:13], 2, v[10:11]
	v_cndmask_b32_e32 v3, v15, v3, vcc_lo
	s_delay_alu instid0(VALU_DEP_4) | instskip(NEXT) | instid1(VALU_DEP_2)
	v_cmp_ne_u32_e32 vcc_lo, 0, v1
	v_cmp_ne_u32_e64 s0, 0, v3
	s_delay_alu instid0(VALU_DEP_4) | instskip(NEXT) | instid1(VALU_DEP_1)
	v_dual_cndmask_b32 v1, v17, v13, vcc_lo :: v_dual_cndmask_b32 v3, v16, v12, vcc_lo
                                        ; implicit-def: $vgpr12_vgpr13
	v_dual_cndmask_b32 v1, v11, v1, s0 :: v_dual_cndmask_b32 v3, v10, v3, s0
	s_delay_alu instid0(VALU_DEP_1) | instskip(NEXT) | instid1(VALU_DEP_2)
	v_dual_mov_b32 v9, v8 :: v_dual_bitop2_b32 v11, v1, v8 bitop3:0x14
	v_xor_b32_e32 v10, v3, v8
	s_delay_alu instid0(VALU_DEP_1)
	v_sub_nc_u64_e32 v[8:9], v[10:11], v[8:9]
.LBB10_17:
	s_and_not1_saveexec_b32 s0, s44
	s_cbranch_execz .LBB10_19
; %bb.18:
	v_cvt_f32_u32_e32 v1, s12
	s_sub_co_i32 s14, 0, s12
	v_mov_b32_e32 v9, 0
	s_delay_alu instid0(VALU_DEP_2) | instskip(SKIP_1) | instid1(TRANS32_DEP_1)
	v_rcp_iflag_f32_e32 v1, v1
	v_nop
	v_mul_f32_e32 v1, 0x4f7ffffe, v1
	s_delay_alu instid0(VALU_DEP_1) | instskip(NEXT) | instid1(VALU_DEP_1)
	v_cvt_u32_f32_e32 v1, v1
	v_mul_lo_u32 v3, s14, v1
	s_delay_alu instid0(VALU_DEP_1) | instskip(NEXT) | instid1(VALU_DEP_1)
	v_mul_hi_u32 v3, v1, v3
	v_add_nc_u32_e32 v1, v1, v3
	s_delay_alu instid0(VALU_DEP_1) | instskip(NEXT) | instid1(VALU_DEP_1)
	v_mul_hi_u32 v1, v12, v1
	v_mul_lo_u32 v3, v1, s12
	s_delay_alu instid0(VALU_DEP_1) | instskip(NEXT) | instid1(VALU_DEP_1)
	v_sub_nc_u32_e32 v3, v12, v3
	v_subrev_nc_u32_e32 v8, s12, v3
	v_cmp_le_u32_e32 vcc_lo, s12, v3
	s_delay_alu instid0(VALU_DEP_2) | instskip(NEXT) | instid1(VALU_DEP_1)
	v_dual_add_nc_u32 v5, 1, v1 :: v_dual_cndmask_b32 v3, v3, v8, vcc_lo
	v_cndmask_b32_e32 v1, v1, v5, vcc_lo
	s_delay_alu instid0(VALU_DEP_2) | instskip(NEXT) | instid1(VALU_DEP_2)
	v_cmp_le_u32_e32 vcc_lo, s12, v3
	v_add_nc_u32_e32 v5, 1, v1
	s_delay_alu instid0(VALU_DEP_1)
	v_cndmask_b32_e32 v8, v1, v5, vcc_lo
.LBB10_19:
	s_or_b32 exec_lo, exec_lo, s0
.LBB10_20:
	s_delay_alu instid0(SALU_CYCLE_1) | instskip(SKIP_2) | instid1(VALU_DEP_1)
	s_or_b32 exec_lo, exec_lo, s1
	v_dual_mov_b32 v10, 0 :: v_dual_bitop2_b32 v11, s13, v7 bitop3:0x54
                                        ; implicit-def: $vgpr12_vgpr13
	s_mov_b32 s0, exec_lo
	v_cmpx_ne_u64_e32 0, v[10:11]
	s_xor_b32 s1, exec_lo, s0
	s_cbranch_execz .LBB10_22
; %bb.21:
	s_ashr_i32 s14, s13, 31
	s_mov_b32 s51, 0
	s_mov_b32 s15, s14
	v_dual_mov_b32 v19, v10 :: v_dual_ashrrev_i32 v12, 31, v7
	s_add_nc_u64 s[42:43], s[12:13], s[14:15]
	v_mov_b32_e32 v21, v10
	s_xor_b64 s[42:43], s[42:43], s[14:15]
	s_delay_alu instid0(VALU_DEP_2)
	v_mov_b32_e32 v13, v12
	s_cvt_f32_u32 s0, s42
	s_cvt_f32_u32 s15, s43
	s_sub_nc_u64 s[46:47], 0, s[42:43]
	v_mov_b32_e32 v27, v10
	v_add_nc_u64_e32 v[16:17], v[6:7], v[12:13]
	s_fmamk_f32 s0, s15, 0x4f800000, s0
	v_mov_b32_e32 v11, v10
	s_delay_alu instid0(SALU_CYCLE_2) | instskip(NEXT) | instid1(VALU_DEP_2)
	v_s_rcp_f32 s0, s0
	v_xor_b32_e32 v18, v16, v12
	s_delay_alu instid0(VALU_DEP_3) | instskip(SKIP_1) | instid1(TRANS32_DEP_1)
	v_xor_b32_e32 v20, v17, v12
	v_xor_b32_e32 v12, s14, v12
	s_mul_f32 s0, s0, 0x5f7ffffc
	s_delay_alu instid0(SALU_CYCLE_3) | instskip(NEXT) | instid1(SALU_CYCLE_3)
	s_mul_f32 s15, s0, 0x2f800000
	s_trunc_f32 s15, s15
	s_delay_alu instid0(SALU_CYCLE_3) | instskip(SKIP_1) | instid1(SALU_CYCLE_2)
	s_fmamk_f32 s0, s15, 0xcf800000, s0
	s_cvt_u32_f32 s45, s15
	s_cvt_u32_f32 s44, s0
	s_delay_alu instid0(SALU_CYCLE_3) | instskip(NEXT) | instid1(SALU_CYCLE_1)
	s_mul_u64 s[48:49], s[46:47], s[44:45]
	s_mul_hi_u32 s53, s44, s49
	s_mul_i32 s52, s44, s49
	s_mul_hi_u32 s50, s44, s48
	s_mul_i32 s15, s45, s48
	s_add_nc_u64 s[52:53], s[50:51], s[52:53]
	s_mul_hi_u32 s0, s45, s48
	s_mul_hi_u32 s54, s45, s49
	s_add_co_u32 s15, s52, s15
	s_add_co_ci_u32 s50, s53, s0
	s_mul_i32 s48, s45, s49
	s_add_co_ci_u32 s49, s54, 0
	s_delay_alu instid0(SALU_CYCLE_1) | instskip(NEXT) | instid1(SALU_CYCLE_1)
	s_add_nc_u64 s[48:49], s[50:51], s[48:49]
	s_add_co_u32 s44, s44, s48
	s_cselect_b32 s0, -1, 0
	s_delay_alu instid0(SALU_CYCLE_1) | instskip(SKIP_1) | instid1(SALU_CYCLE_1)
	s_cmp_lg_u32 s0, 0
	s_add_co_ci_u32 s45, s45, s49
	s_mul_u64 s[46:47], s[46:47], s[44:45]
	s_delay_alu instid0(SALU_CYCLE_1)
	s_mul_hi_u32 s49, s44, s47
	s_mul_i32 s48, s44, s47
	s_mul_hi_u32 s50, s44, s46
	s_mul_i32 s15, s45, s46
	s_add_nc_u64 s[48:49], s[50:51], s[48:49]
	s_mul_hi_u32 s0, s45, s46
	s_mul_hi_u32 s52, s45, s47
	s_add_co_u32 s15, s48, s15
	s_add_co_ci_u32 s50, s49, s0
	s_mul_i32 s46, s45, s47
	s_add_co_ci_u32 s47, s52, 0
	s_delay_alu instid0(SALU_CYCLE_1) | instskip(NEXT) | instid1(SALU_CYCLE_1)
	s_add_nc_u64 s[46:47], s[50:51], s[46:47]
	s_add_co_u32 s0, s44, s46
	s_cselect_b32 s15, -1, 0
	v_mul_hi_u32 v26, v18, s0
	s_cmp_lg_u32 s15, 0
	s_add_co_ci_u32 s50, s45, s47
	s_mov_b64 s[44:45], 0xffffffff
	v_mul_u64_e32 v[22:23], s[50:51], v[18:19]
	s_and_b64 s[44:45], s[0:1], s[44:45]
	v_mul_u64_e32 v[24:25], s[50:51], v[20:21]
	v_mul_u64_e32 v[16:17], s[44:45], v[20:21]
	s_delay_alu instid0(VALU_DEP_3) | instskip(NEXT) | instid1(VALU_DEP_1)
	v_add_nc_u64_e32 v[22:23], v[26:27], v[22:23]
	v_add_co_u32 v1, vcc_lo, v22, v16
	s_delay_alu instid0(VALU_DEP_2) | instskip(SKIP_1) | instid1(VALU_DEP_1)
	v_add_co_ci_u32_e32 v10, vcc_lo, v23, v17, vcc_lo
	v_add_co_ci_u32_e32 v25, vcc_lo, 0, v25, vcc_lo
	v_add_nc_u64_e32 v[10:11], v[10:11], v[24:25]
	s_delay_alu instid0(VALU_DEP_1) | instskip(NEXT) | instid1(VALU_DEP_1)
	v_mul_u64_e32 v[16:17], s[42:43], v[10:11]
	v_sub_nc_u32_e32 v1, v20, v17
	s_delay_alu instid0(VALU_DEP_2) | instskip(NEXT) | instid1(VALU_DEP_1)
	v_sub_co_u32 v3, vcc_lo, v18, v16
	v_sub_co_ci_u32_e64 v13, null, v20, v17, vcc_lo
	s_delay_alu instid0(VALU_DEP_3) | instskip(NEXT) | instid1(VALU_DEP_3)
	v_subrev_co_ci_u32_e64 v1, null, s43, v1, vcc_lo
	v_sub_co_u32 v5, s0, v3, s42
	v_add_nc_u64_e32 v[16:17], 2, v[10:11]
	s_delay_alu instid0(VALU_DEP_3) | instskip(NEXT) | instid1(VALU_DEP_3)
	v_subrev_co_ci_u32_e64 v1, null, 0, v1, s0
	v_cmp_le_u32_e32 vcc_lo, s42, v5
	v_add_nc_u64_e32 v[18:19], 1, v[10:11]
	v_cndmask_b32_e64 v5, 0, -1, vcc_lo
	s_delay_alu instid0(VALU_DEP_4)
	v_cmp_le_u32_e32 vcc_lo, s43, v1
	v_cndmask_b32_e64 v15, 0, -1, vcc_lo
	v_cmp_le_u32_e32 vcc_lo, s42, v3
	v_cndmask_b32_e64 v3, 0, -1, vcc_lo
	;; [unrolled: 2-line block ×3, first 2 shown]
	v_cmp_eq_u32_e32 vcc_lo, s43, v1
	v_cndmask_b32_e32 v1, v15, v5, vcc_lo
	v_cmp_eq_u32_e32 vcc_lo, s43, v13
	s_delay_alu instid0(VALU_DEP_4) | instskip(NEXT) | instid1(VALU_DEP_3)
	v_cndmask_b32_e32 v3, v20, v3, vcc_lo
	v_cmp_ne_u32_e32 vcc_lo, 0, v1
	s_delay_alu instid0(VALU_DEP_2) | instskip(SKIP_1) | instid1(VALU_DEP_1)
	v_cmp_ne_u32_e64 s0, 0, v3
	v_dual_cndmask_b32 v1, v19, v17, vcc_lo :: v_dual_cndmask_b32 v3, v18, v16, vcc_lo
	v_dual_cndmask_b32 v1, v11, v1, s0 :: v_dual_cndmask_b32 v3, v10, v3, s0
	s_delay_alu instid0(VALU_DEP_1) | instskip(NEXT) | instid1(VALU_DEP_2)
	v_dual_mov_b32 v13, v12 :: v_dual_bitop2_b32 v11, v1, v12 bitop3:0x14
	v_xor_b32_e32 v10, v3, v12
	s_delay_alu instid0(VALU_DEP_1)
	v_sub_nc_u64_e32 v[12:13], v[10:11], v[12:13]
.LBB10_22:
	s_and_not1_saveexec_b32 s0, s1
	s_cbranch_execz .LBB10_24
; %bb.23:
	v_cvt_f32_u32_e32 v1, s12
	s_sub_co_i32 s1, 0, s12
	v_mov_b32_e32 v13, 0
	s_delay_alu instid0(VALU_DEP_2) | instskip(SKIP_1) | instid1(TRANS32_DEP_1)
	v_rcp_iflag_f32_e32 v1, v1
	v_nop
	v_mul_f32_e32 v1, 0x4f7ffffe, v1
	s_delay_alu instid0(VALU_DEP_1) | instskip(NEXT) | instid1(VALU_DEP_1)
	v_cvt_u32_f32_e32 v1, v1
	v_mul_lo_u32 v3, s1, v1
	s_delay_alu instid0(VALU_DEP_1) | instskip(NEXT) | instid1(VALU_DEP_1)
	v_mul_hi_u32 v3, v1, v3
	v_add_nc_u32_e32 v1, v1, v3
	s_delay_alu instid0(VALU_DEP_1) | instskip(NEXT) | instid1(VALU_DEP_1)
	v_mul_hi_u32 v1, v6, v1
	v_mul_lo_u32 v3, v1, s12
	s_delay_alu instid0(VALU_DEP_1) | instskip(NEXT) | instid1(VALU_DEP_1)
	v_sub_nc_u32_e32 v3, v6, v3
	v_subrev_nc_u32_e32 v10, s12, v3
	v_cmp_le_u32_e32 vcc_lo, s12, v3
	s_delay_alu instid0(VALU_DEP_2) | instskip(NEXT) | instid1(VALU_DEP_1)
	v_dual_add_nc_u32 v5, 1, v1 :: v_dual_cndmask_b32 v3, v3, v10, vcc_lo
	v_cndmask_b32_e32 v1, v1, v5, vcc_lo
	s_delay_alu instid0(VALU_DEP_2) | instskip(NEXT) | instid1(VALU_DEP_2)
	v_cmp_le_u32_e32 vcc_lo, s12, v3
	v_add_nc_u32_e32 v5, 1, v1
	s_delay_alu instid0(VALU_DEP_1)
	v_cndmask_b32_e32 v12, v1, v5, vcc_lo
.LBB10_24:
	s_or_b32 exec_lo, exec_lo, s0
	v_mul_u64_e32 v[16:17], s[12:13], v[8:9]
	s_delay_alu instid0(VALU_DEP_2) | instskip(SKIP_2) | instid1(VALU_DEP_2)
	v_min_i64 v[10:11], v[12:13], s[2:3]
	s_mov_b32 s14, 0
	s_mov_b32 s15, exec_lo
	v_add_nc_u64_e32 v[12:13], s[10:11], v[16:17]
	v_cmp_gt_i64_e32 vcc_lo, v[16:17], v[6:7]
	s_delay_alu instid0(VALU_DEP_2) | instskip(SKIP_2) | instid1(SALU_CYCLE_1)
	v_cmp_ge_i64_e64 s0, v[6:7], v[12:13]
	v_mov_b32_e32 v13, s14
	s_or_b32 s0, vcc_lo, s0
	v_cndmask_b32_e64 v12, 0, 1, s0
	s_delay_alu instid0(VALU_DEP_1) | instskip(NEXT) | instid1(VALU_DEP_1)
	v_add_nc_u64_e32 v[8:9], v[8:9], v[12:13]
	v_cmpx_le_i64_e64 v[8:9], v[10:11]
	s_cbranch_execz .LBB10_27
; %bb.25:
	global_load_u8 v1, v2, s[4:5]
	v_mul_u64_e32 v[12:13], s[12:13], v[8:9]
	v_mul_u64_e32 v[16:17], s[16:17], v[8:9]
	s_mul_u64 s[0:1], s[12:13], s[18:19]
	s_delay_alu instid0(SALU_CYCLE_1) | instskip(NEXT) | instid1(VALU_DEP_2)
	s_sub_nc_u64 s[0:1], s[16:17], s[0:1]
	v_sub_nc_u64_e32 v[6:7], v[6:7], v[12:13]
	s_delay_alu instid0(VALU_DEP_1) | instskip(NEXT) | instid1(VALU_DEP_1)
	v_mad_nc_u64_u32 v[12:13], s18, v6, v[16:17]
	v_mad_u32 v3, s19, v6, v13
	s_delay_alu instid0(VALU_DEP_1) | instskip(SKIP_1) | instid1(VALU_DEP_1)
	v_mad_u32 v13, s18, v7, v3
	v_mov_b32_e32 v3, 0
	v_mov_b32_e32 v5, v3
	s_wait_xcnt 0x0
	v_add_nc_u64_e32 v[2:3], s[4:5], v[2:3]
	s_delay_alu instid0(VALU_DEP_2) | instskip(SKIP_1) | instid1(VALU_DEP_2)
	v_add_nc_u64_e32 v[6:7], v[12:13], v[4:5]
	v_add_nc_u64_e32 v[4:5], -1, v[8:9]
	v_add_nc_u64_e32 v[6:7], s[6:7], v[6:7]
.LBB10_26:                              ; =>This Inner Loop Header: Depth=1
	global_load_u8 v8, v[6:7], off
	v_add_nc_u64_e32 v[4:5], 1, v[4:5]
	s_wait_xcnt 0x0
	v_add_nc_u64_e32 v[6:7], s[0:1], v[6:7]
	s_delay_alu instid0(VALU_DEP_2)
	v_cmp_ge_i64_e32 vcc_lo, v[4:5], v[10:11]
	s_or_b32 s14, vcc_lo, s14
	s_wait_loadcnt 0x0
	v_or_b32_e32 v1, v8, v1
	global_store_b8 v[2:3], v1, off
	s_wait_xcnt 0x0
	s_and_not1_b32 exec_lo, exec_lo, s14
	s_cbranch_execnz .LBB10_26
.LBB10_27:
	s_or_b32 exec_lo, exec_lo, s15
	v_add_nc_u32_e32 v0, 0x100, v0
	s_or_b32 exec_lo, exec_lo, s29
	s_delay_alu instid0(SALU_CYCLE_1) | instskip(NEXT) | instid1(VALU_DEP_1)
	s_mov_b32 s29, exec_lo
	v_cmpx_gt_i32_e64 s31, v0
	s_cbranch_execz .LBB10_2
.LBB10_28:
	v_cmp_ne_u32_e32 vcc_lo, 1, v14
	s_cbranch_vccnz .LBB10_35
; %bb.29:
	v_dual_mov_b32 v3, 0 :: v_dual_mov_b32 v4, 0
	v_mov_b32_e32 v2, 0
	s_and_not1_b32 vcc_lo, exec_lo, s33
	s_cbranch_vccnz .LBB10_34
; %bb.30:
	v_dual_mov_b32 v2, 0 :: v_dual_mov_b32 v1, v0
	v_dual_mov_b32 v4, 0 :: v_dual_mov_b32 v3, 0
	s_add_co_i32 s14, s22, 1
	s_mov_b64 s[0:1], 0xffffffffffffffe8
	s_and_b32 s14, s14, 30
	s_add_nc_u64 s[0:1], s[40:41], s[0:1]
.LBB10_31:                              ; =>This Inner Loop Header: Depth=1
	s_clause 0x1
	s_load_b128 s[44:47], s[0:1], 0x1c
	s_load_b64 s[42:43], s[0:1], 0x2c
	s_add_co_i32 s14, s14, -2
	s_delay_alu instid0(SALU_CYCLE_1) | instskip(SKIP_2) | instid1(VALU_DEP_1)
	s_cmp_eq_u32 s14, 0
	s_wait_kmcnt 0x0
	v_mul_hi_u32 v5, s45, v1
	v_add_nc_u32_e32 v5, v1, v5
	s_delay_alu instid0(VALU_DEP_1) | instskip(NEXT) | instid1(VALU_DEP_1)
	v_lshrrev_b32_e32 v5, s46, v5
	v_mul_hi_u32 v6, s42, v5
	v_mul_lo_u32 v7, v5, s44
	s_clause 0x1
	s_load_b128 s[48:51], s[0:1], 0xdc
	s_load_b64 s[44:45], s[0:1], 0xec
	s_wait_xcnt 0x0
	s_add_nc_u64 s[0:1], s[0:1], 24
	s_delay_alu instid0(VALU_DEP_2) | instskip(NEXT) | instid1(VALU_DEP_1)
	v_add_nc_u32_e32 v6, v5, v6
	v_dual_sub_nc_u32 v7, v1, v7 :: v_dual_lshrrev_b32 v1, s43, v6
	s_wait_kmcnt 0x0
	s_delay_alu instid0(VALU_DEP_1) | instskip(NEXT) | instid1(VALU_DEP_2)
	v_mad_u32 v2, v7, s48, v2
	v_mul_lo_u32 v6, v1, s47
	v_mad_u32 v3, v7, s50, v3
	v_mad_u32 v4, v7, s49, v4
	s_delay_alu instid0(VALU_DEP_3) | instskip(NEXT) | instid1(VALU_DEP_1)
	v_sub_nc_u32_e32 v5, v5, v6
	v_mad_u32 v2, v5, s51, v2
	s_delay_alu instid0(VALU_DEP_4) | instskip(NEXT) | instid1(VALU_DEP_4)
	v_mad_u32 v3, v5, s45, v3
	v_mad_u32 v4, v5, s44, v4
	s_cbranch_scc0 .LBB10_31
; %bb.32:
	s_bitcmp1_b32 s22, 0
	s_cselect_b32 s14, -1, 0
	s_delay_alu instid0(SALU_CYCLE_1)
	s_and_b32 vcc_lo, exec_lo, s14
	s_cbranch_vccnz .LBB10_34
; %bb.33:
	s_clause 0x1
	s_load_b96 s[44:46], s[0:1], 0x1c
	s_load_b96 s[48:50], s[0:1], 0xdc
	s_wait_kmcnt 0x0
	v_mul_hi_u32 v5, s45, v1
	s_delay_alu instid0(VALU_DEP_1) | instskip(NEXT) | instid1(VALU_DEP_1)
	v_add_nc_u32_e32 v5, v1, v5
	v_lshrrev_b32_e32 v5, s46, v5
	s_delay_alu instid0(VALU_DEP_1) | instskip(NEXT) | instid1(VALU_DEP_1)
	v_mul_lo_u32 v5, v5, s44
	v_sub_nc_u32_e32 v1, v1, v5
	s_delay_alu instid0(VALU_DEP_1)
	v_mad_u32 v2, v1, s48, v2
	v_mad_u32 v4, v1, s49, v4
	;; [unrolled: 1-line block ×3, first 2 shown]
.LBB10_34:
	s_cbranch_execz .LBB10_36
	s_branch .LBB10_38
.LBB10_35:
                                        ; implicit-def: $vgpr3
                                        ; implicit-def: $vgpr4
                                        ; implicit-def: $vgpr2
.LBB10_36:
	v_mov_b32_e32 v1, 0
	s_and_not1_b32 vcc_lo, exec_lo, s20
	s_delay_alu instid0(VALU_DEP_1) | instskip(NEXT) | instid1(VALU_DEP_1)
	v_mul_u64_e32 v[2:3], s[36:37], v[0:1]
	v_add_nc_u32_e32 v2, v0, v3
	s_delay_alu instid0(VALU_DEP_1) | instskip(NEXT) | instid1(VALU_DEP_1)
	v_lshrrev_b32_e32 v6, s23, v2
	v_mul_lo_u32 v2, v6, s21
	s_delay_alu instid0(VALU_DEP_1) | instskip(NEXT) | instid1(VALU_DEP_1)
	v_sub_nc_u32_e32 v4, v0, v2
	v_mul_lo_u32 v2, v4, s24
	v_mul_lo_u32 v3, v4, s26
	;; [unrolled: 1-line block ×3, first 2 shown]
	s_cbranch_vccnz .LBB10_38
; %bb.37:
	v_mov_b32_e32 v7, v1
	s_delay_alu instid0(VALU_DEP_1) | instskip(NEXT) | instid1(VALU_DEP_1)
	v_mul_u64_e32 v[8:9], s[38:39], v[6:7]
	v_add_nc_u32_e32 v1, v6, v9
	s_delay_alu instid0(VALU_DEP_1) | instskip(NEXT) | instid1(VALU_DEP_1)
	v_lshrrev_b32_e32 v1, s30, v1
	v_mul_lo_u32 v1, v1, s28
	s_delay_alu instid0(VALU_DEP_1) | instskip(NEXT) | instid1(VALU_DEP_1)
	v_sub_nc_u32_e32 v1, v6, v1
	v_mad_u32 v2, v1, s27, v2
	v_mad_u32 v4, v1, s34, v4
	;; [unrolled: 1-line block ×3, first 2 shown]
.LBB10_38:
	global_load_b64 v[6:7], v3, s[8:9]
	v_mov_b64_e32 v[8:9], 0
	s_mov_b32 s1, exec_lo
	s_wait_loadcnt 0x0
	v_cmpx_lt_i64_e64 s[10:11], v[6:7]
	s_cbranch_execz .LBB10_44
; %bb.39:
	v_sub_nc_u64_e64 v[12:13], v[6:7], s[10:11]
                                        ; implicit-def: $vgpr8_vgpr9
	s_mov_b32 s0, exec_lo
	s_delay_alu instid0(VALU_DEP_1) | instskip(NEXT) | instid1(VALU_DEP_1)
	v_dual_mov_b32 v10, 0 :: v_dual_bitop2_b32 v11, s13, v13 bitop3:0x54
	v_cmpx_ne_u64_e32 0, v[10:11]
	s_xor_b32 s44, exec_lo, s0
	s_cbranch_execz .LBB10_41
; %bb.40:
	s_ashr_i32 s14, s13, 31
	s_mov_b32 s53, 0
	s_mov_b32 s15, s14
	v_dual_mov_b32 v17, v10 :: v_dual_ashrrev_i32 v8, 31, v13
	s_add_nc_u64 s[42:43], s[12:13], s[14:15]
	v_mov_b32_e32 v19, v10
	s_xor_b64 s[42:43], s[42:43], s[14:15]
	s_delay_alu instid0(VALU_DEP_2)
	v_mov_b32_e32 v9, v8
	s_cvt_f32_u32 s0, s42
	s_cvt_f32_u32 s15, s43
	s_sub_nc_u64 s[48:49], 0, s[42:43]
	v_mov_b32_e32 v25, v10
	v_add_nc_u64_e32 v[12:13], v[12:13], v[8:9]
	s_fmamk_f32 s0, s15, 0x4f800000, s0
	v_mov_b32_e32 v11, v10
	s_delay_alu instid0(SALU_CYCLE_2) | instskip(NEXT) | instid1(VALU_DEP_2)
	v_s_rcp_f32 s0, s0
	v_xor_b32_e32 v16, v12, v8
	s_delay_alu instid0(VALU_DEP_3) | instskip(SKIP_1) | instid1(TRANS32_DEP_1)
	v_xor_b32_e32 v18, v13, v8
	v_xor_b32_e32 v8, s14, v8
	s_mul_f32 s0, s0, 0x5f7ffffc
	s_delay_alu instid0(SALU_CYCLE_3) | instskip(NEXT) | instid1(SALU_CYCLE_3)
	s_mul_f32 s15, s0, 0x2f800000
	s_trunc_f32 s15, s15
	s_delay_alu instid0(SALU_CYCLE_3) | instskip(SKIP_1) | instid1(SALU_CYCLE_2)
	s_fmamk_f32 s0, s15, 0xcf800000, s0
	s_cvt_u32_f32 s47, s15
	s_cvt_u32_f32 s46, s0
	s_delay_alu instid0(SALU_CYCLE_3) | instskip(NEXT) | instid1(SALU_CYCLE_1)
	s_mul_u64 s[50:51], s[48:49], s[46:47]
	s_mul_hi_u32 s55, s46, s51
	s_mul_i32 s54, s46, s51
	s_mul_hi_u32 s52, s46, s50
	s_mul_i32 s15, s47, s50
	s_add_nc_u64 s[54:55], s[52:53], s[54:55]
	s_mul_hi_u32 s0, s47, s50
	s_mul_hi_u32 s45, s47, s51
	s_add_co_u32 s15, s54, s15
	s_add_co_ci_u32 s52, s55, s0
	s_mul_i32 s50, s47, s51
	s_add_co_ci_u32 s51, s45, 0
	s_delay_alu instid0(SALU_CYCLE_1) | instskip(NEXT) | instid1(SALU_CYCLE_1)
	s_add_nc_u64 s[50:51], s[52:53], s[50:51]
	s_add_co_u32 s46, s46, s50
	s_cselect_b32 s0, -1, 0
	s_delay_alu instid0(SALU_CYCLE_1) | instskip(SKIP_1) | instid1(SALU_CYCLE_1)
	s_cmp_lg_u32 s0, 0
	s_add_co_ci_u32 s47, s47, s51
	s_mul_u64 s[48:49], s[48:49], s[46:47]
	s_delay_alu instid0(SALU_CYCLE_1)
	s_mul_hi_u32 s51, s46, s49
	s_mul_i32 s50, s46, s49
	s_mul_hi_u32 s52, s46, s48
	s_mul_i32 s15, s47, s48
	s_add_nc_u64 s[50:51], s[52:53], s[50:51]
	s_mul_hi_u32 s0, s47, s48
	s_mul_hi_u32 s45, s47, s49
	s_add_co_u32 s15, s50, s15
	s_add_co_ci_u32 s52, s51, s0
	s_mul_i32 s48, s47, s49
	s_add_co_ci_u32 s49, s45, 0
	s_delay_alu instid0(SALU_CYCLE_1) | instskip(NEXT) | instid1(SALU_CYCLE_1)
	s_add_nc_u64 s[48:49], s[52:53], s[48:49]
	s_add_co_u32 s0, s46, s48
	s_cselect_b32 s15, -1, 0
	v_mul_hi_u32 v24, v16, s0
	s_cmp_lg_u32 s15, 0
	s_add_co_ci_u32 s52, s47, s49
	s_mov_b64 s[46:47], 0xffffffff
	v_mul_u64_e32 v[20:21], s[52:53], v[16:17]
	s_and_b64 s[46:47], s[0:1], s[46:47]
	v_mul_u64_e32 v[22:23], s[52:53], v[18:19]
	v_mul_u64_e32 v[12:13], s[46:47], v[18:19]
	s_delay_alu instid0(VALU_DEP_3) | instskip(NEXT) | instid1(VALU_DEP_1)
	v_add_nc_u64_e32 v[20:21], v[24:25], v[20:21]
	v_add_co_u32 v1, vcc_lo, v20, v12
	s_delay_alu instid0(VALU_DEP_2) | instskip(SKIP_1) | instid1(VALU_DEP_1)
	v_add_co_ci_u32_e32 v10, vcc_lo, v21, v13, vcc_lo
	v_add_co_ci_u32_e32 v23, vcc_lo, 0, v23, vcc_lo
	v_add_nc_u64_e32 v[10:11], v[10:11], v[22:23]
	s_delay_alu instid0(VALU_DEP_1) | instskip(NEXT) | instid1(VALU_DEP_1)
	v_mul_u64_e32 v[12:13], s[42:43], v[10:11]
	v_sub_nc_u32_e32 v1, v18, v13
	s_delay_alu instid0(VALU_DEP_2) | instskip(NEXT) | instid1(VALU_DEP_1)
	v_sub_co_u32 v3, vcc_lo, v16, v12
	v_sub_co_ci_u32_e64 v9, null, v18, v13, vcc_lo
	s_delay_alu instid0(VALU_DEP_3) | instskip(NEXT) | instid1(VALU_DEP_3)
	v_subrev_co_ci_u32_e64 v1, null, s43, v1, vcc_lo
	v_sub_co_u32 v5, s0, v3, s42
	v_add_nc_u64_e32 v[16:17], 1, v[10:11]
	s_delay_alu instid0(VALU_DEP_3) | instskip(NEXT) | instid1(VALU_DEP_3)
	v_subrev_co_ci_u32_e64 v1, null, 0, v1, s0
	v_cmp_le_u32_e32 vcc_lo, s42, v5
	v_cndmask_b32_e64 v5, 0, -1, vcc_lo
	s_delay_alu instid0(VALU_DEP_3)
	v_cmp_le_u32_e32 vcc_lo, s43, v1
	v_cndmask_b32_e64 v12, 0, -1, vcc_lo
	v_cmp_le_u32_e32 vcc_lo, s42, v3
	v_cndmask_b32_e64 v3, 0, -1, vcc_lo
	;; [unrolled: 2-line block ×3, first 2 shown]
	v_cmp_eq_u32_e32 vcc_lo, s43, v1
	v_cndmask_b32_e32 v1, v12, v5, vcc_lo
	v_cmp_eq_u32_e32 vcc_lo, s43, v9
	v_add_nc_u64_e32 v[12:13], 2, v[10:11]
	v_cndmask_b32_e32 v3, v15, v3, vcc_lo
	s_delay_alu instid0(VALU_DEP_4) | instskip(NEXT) | instid1(VALU_DEP_2)
	v_cmp_ne_u32_e32 vcc_lo, 0, v1
	v_cmp_ne_u32_e64 s0, 0, v3
	s_delay_alu instid0(VALU_DEP_4) | instskip(NEXT) | instid1(VALU_DEP_1)
	v_dual_cndmask_b32 v1, v17, v13, vcc_lo :: v_dual_cndmask_b32 v3, v16, v12, vcc_lo
                                        ; implicit-def: $vgpr12_vgpr13
	v_dual_cndmask_b32 v1, v11, v1, s0 :: v_dual_cndmask_b32 v3, v10, v3, s0
	s_delay_alu instid0(VALU_DEP_1) | instskip(NEXT) | instid1(VALU_DEP_2)
	v_dual_mov_b32 v9, v8 :: v_dual_bitop2_b32 v11, v1, v8 bitop3:0x14
	v_xor_b32_e32 v10, v3, v8
	s_delay_alu instid0(VALU_DEP_1)
	v_sub_nc_u64_e32 v[8:9], v[10:11], v[8:9]
.LBB10_41:
	s_and_not1_saveexec_b32 s0, s44
	s_cbranch_execz .LBB10_43
; %bb.42:
	v_cvt_f32_u32_e32 v1, s12
	s_sub_co_i32 s14, 0, s12
	v_mov_b32_e32 v9, 0
	s_delay_alu instid0(VALU_DEP_2) | instskip(SKIP_1) | instid1(TRANS32_DEP_1)
	v_rcp_iflag_f32_e32 v1, v1
	v_nop
	v_mul_f32_e32 v1, 0x4f7ffffe, v1
	s_delay_alu instid0(VALU_DEP_1) | instskip(NEXT) | instid1(VALU_DEP_1)
	v_cvt_u32_f32_e32 v1, v1
	v_mul_lo_u32 v3, s14, v1
	s_delay_alu instid0(VALU_DEP_1) | instskip(NEXT) | instid1(VALU_DEP_1)
	v_mul_hi_u32 v3, v1, v3
	v_add_nc_u32_e32 v1, v1, v3
	s_delay_alu instid0(VALU_DEP_1) | instskip(NEXT) | instid1(VALU_DEP_1)
	v_mul_hi_u32 v1, v12, v1
	v_mul_lo_u32 v3, v1, s12
	s_delay_alu instid0(VALU_DEP_1) | instskip(NEXT) | instid1(VALU_DEP_1)
	v_sub_nc_u32_e32 v3, v12, v3
	v_subrev_nc_u32_e32 v8, s12, v3
	v_cmp_le_u32_e32 vcc_lo, s12, v3
	s_delay_alu instid0(VALU_DEP_2) | instskip(NEXT) | instid1(VALU_DEP_1)
	v_dual_add_nc_u32 v5, 1, v1 :: v_dual_cndmask_b32 v3, v3, v8, vcc_lo
	v_cndmask_b32_e32 v1, v1, v5, vcc_lo
	s_delay_alu instid0(VALU_DEP_2) | instskip(NEXT) | instid1(VALU_DEP_2)
	v_cmp_le_u32_e32 vcc_lo, s12, v3
	v_add_nc_u32_e32 v5, 1, v1
	s_delay_alu instid0(VALU_DEP_1)
	v_cndmask_b32_e32 v8, v1, v5, vcc_lo
.LBB10_43:
	s_or_b32 exec_lo, exec_lo, s0
.LBB10_44:
	s_delay_alu instid0(SALU_CYCLE_1) | instskip(SKIP_2) | instid1(VALU_DEP_1)
	s_or_b32 exec_lo, exec_lo, s1
	v_dual_mov_b32 v10, 0 :: v_dual_bitop2_b32 v11, s13, v7 bitop3:0x54
                                        ; implicit-def: $vgpr12_vgpr13
	s_mov_b32 s0, exec_lo
	v_cmpx_ne_u64_e32 0, v[10:11]
	s_xor_b32 s1, exec_lo, s0
	s_cbranch_execz .LBB10_46
; %bb.45:
	s_ashr_i32 s14, s13, 31
	s_mov_b32 s51, 0
	s_mov_b32 s15, s14
	v_dual_mov_b32 v19, v10 :: v_dual_ashrrev_i32 v12, 31, v7
	s_add_nc_u64 s[42:43], s[12:13], s[14:15]
	v_mov_b32_e32 v21, v10
	s_xor_b64 s[42:43], s[42:43], s[14:15]
	s_delay_alu instid0(VALU_DEP_2)
	v_mov_b32_e32 v13, v12
	s_cvt_f32_u32 s0, s42
	s_cvt_f32_u32 s15, s43
	s_sub_nc_u64 s[46:47], 0, s[42:43]
	v_mov_b32_e32 v27, v10
	v_add_nc_u64_e32 v[16:17], v[6:7], v[12:13]
	s_fmamk_f32 s0, s15, 0x4f800000, s0
	v_mov_b32_e32 v11, v10
	s_delay_alu instid0(SALU_CYCLE_2) | instskip(NEXT) | instid1(VALU_DEP_2)
	v_s_rcp_f32 s0, s0
	v_xor_b32_e32 v18, v16, v12
	s_delay_alu instid0(VALU_DEP_3) | instskip(SKIP_1) | instid1(TRANS32_DEP_1)
	v_xor_b32_e32 v20, v17, v12
	v_xor_b32_e32 v12, s14, v12
	s_mul_f32 s0, s0, 0x5f7ffffc
	s_delay_alu instid0(SALU_CYCLE_3) | instskip(NEXT) | instid1(SALU_CYCLE_3)
	s_mul_f32 s15, s0, 0x2f800000
	s_trunc_f32 s15, s15
	s_delay_alu instid0(SALU_CYCLE_3) | instskip(SKIP_1) | instid1(SALU_CYCLE_2)
	s_fmamk_f32 s0, s15, 0xcf800000, s0
	s_cvt_u32_f32 s45, s15
	s_cvt_u32_f32 s44, s0
	s_delay_alu instid0(SALU_CYCLE_3) | instskip(NEXT) | instid1(SALU_CYCLE_1)
	s_mul_u64 s[48:49], s[46:47], s[44:45]
	s_mul_hi_u32 s53, s44, s49
	s_mul_i32 s52, s44, s49
	s_mul_hi_u32 s50, s44, s48
	s_mul_i32 s15, s45, s48
	s_add_nc_u64 s[52:53], s[50:51], s[52:53]
	s_mul_hi_u32 s0, s45, s48
	s_mul_hi_u32 s54, s45, s49
	s_add_co_u32 s15, s52, s15
	s_add_co_ci_u32 s50, s53, s0
	s_mul_i32 s48, s45, s49
	s_add_co_ci_u32 s49, s54, 0
	s_delay_alu instid0(SALU_CYCLE_1) | instskip(NEXT) | instid1(SALU_CYCLE_1)
	s_add_nc_u64 s[48:49], s[50:51], s[48:49]
	s_add_co_u32 s44, s44, s48
	s_cselect_b32 s0, -1, 0
	s_delay_alu instid0(SALU_CYCLE_1) | instskip(SKIP_1) | instid1(SALU_CYCLE_1)
	s_cmp_lg_u32 s0, 0
	s_add_co_ci_u32 s45, s45, s49
	s_mul_u64 s[46:47], s[46:47], s[44:45]
	s_delay_alu instid0(SALU_CYCLE_1)
	s_mul_hi_u32 s49, s44, s47
	s_mul_i32 s48, s44, s47
	s_mul_hi_u32 s50, s44, s46
	s_mul_i32 s15, s45, s46
	s_add_nc_u64 s[48:49], s[50:51], s[48:49]
	s_mul_hi_u32 s0, s45, s46
	s_mul_hi_u32 s52, s45, s47
	s_add_co_u32 s15, s48, s15
	s_add_co_ci_u32 s50, s49, s0
	s_mul_i32 s46, s45, s47
	s_add_co_ci_u32 s47, s52, 0
	s_delay_alu instid0(SALU_CYCLE_1) | instskip(NEXT) | instid1(SALU_CYCLE_1)
	s_add_nc_u64 s[46:47], s[50:51], s[46:47]
	s_add_co_u32 s0, s44, s46
	s_cselect_b32 s15, -1, 0
	v_mul_hi_u32 v26, v18, s0
	s_cmp_lg_u32 s15, 0
	s_add_co_ci_u32 s50, s45, s47
	s_mov_b64 s[44:45], 0xffffffff
	v_mul_u64_e32 v[22:23], s[50:51], v[18:19]
	s_and_b64 s[44:45], s[0:1], s[44:45]
	v_mul_u64_e32 v[24:25], s[50:51], v[20:21]
	v_mul_u64_e32 v[16:17], s[44:45], v[20:21]
	s_delay_alu instid0(VALU_DEP_3) | instskip(NEXT) | instid1(VALU_DEP_1)
	v_add_nc_u64_e32 v[22:23], v[26:27], v[22:23]
	v_add_co_u32 v1, vcc_lo, v22, v16
	s_delay_alu instid0(VALU_DEP_2) | instskip(SKIP_1) | instid1(VALU_DEP_1)
	v_add_co_ci_u32_e32 v10, vcc_lo, v23, v17, vcc_lo
	v_add_co_ci_u32_e32 v25, vcc_lo, 0, v25, vcc_lo
	v_add_nc_u64_e32 v[10:11], v[10:11], v[24:25]
	s_delay_alu instid0(VALU_DEP_1) | instskip(NEXT) | instid1(VALU_DEP_1)
	v_mul_u64_e32 v[16:17], s[42:43], v[10:11]
	v_sub_nc_u32_e32 v1, v20, v17
	s_delay_alu instid0(VALU_DEP_2) | instskip(NEXT) | instid1(VALU_DEP_1)
	v_sub_co_u32 v3, vcc_lo, v18, v16
	v_sub_co_ci_u32_e64 v13, null, v20, v17, vcc_lo
	s_delay_alu instid0(VALU_DEP_3) | instskip(NEXT) | instid1(VALU_DEP_3)
	v_subrev_co_ci_u32_e64 v1, null, s43, v1, vcc_lo
	v_sub_co_u32 v5, s0, v3, s42
	v_add_nc_u64_e32 v[16:17], 2, v[10:11]
	s_delay_alu instid0(VALU_DEP_3) | instskip(NEXT) | instid1(VALU_DEP_3)
	v_subrev_co_ci_u32_e64 v1, null, 0, v1, s0
	v_cmp_le_u32_e32 vcc_lo, s42, v5
	v_add_nc_u64_e32 v[18:19], 1, v[10:11]
	v_cndmask_b32_e64 v5, 0, -1, vcc_lo
	s_delay_alu instid0(VALU_DEP_4)
	v_cmp_le_u32_e32 vcc_lo, s43, v1
	v_cndmask_b32_e64 v15, 0, -1, vcc_lo
	v_cmp_le_u32_e32 vcc_lo, s42, v3
	v_cndmask_b32_e64 v3, 0, -1, vcc_lo
	;; [unrolled: 2-line block ×3, first 2 shown]
	v_cmp_eq_u32_e32 vcc_lo, s43, v1
	v_cndmask_b32_e32 v1, v15, v5, vcc_lo
	v_cmp_eq_u32_e32 vcc_lo, s43, v13
	s_delay_alu instid0(VALU_DEP_4) | instskip(NEXT) | instid1(VALU_DEP_3)
	v_cndmask_b32_e32 v3, v20, v3, vcc_lo
	v_cmp_ne_u32_e32 vcc_lo, 0, v1
	s_delay_alu instid0(VALU_DEP_2) | instskip(SKIP_1) | instid1(VALU_DEP_1)
	v_cmp_ne_u32_e64 s0, 0, v3
	v_dual_cndmask_b32 v1, v19, v17, vcc_lo :: v_dual_cndmask_b32 v3, v18, v16, vcc_lo
	v_dual_cndmask_b32 v1, v11, v1, s0 :: v_dual_cndmask_b32 v3, v10, v3, s0
	s_delay_alu instid0(VALU_DEP_1) | instskip(NEXT) | instid1(VALU_DEP_2)
	v_dual_mov_b32 v13, v12 :: v_dual_bitop2_b32 v11, v1, v12 bitop3:0x14
	v_xor_b32_e32 v10, v3, v12
	s_delay_alu instid0(VALU_DEP_1)
	v_sub_nc_u64_e32 v[12:13], v[10:11], v[12:13]
.LBB10_46:
	s_and_not1_saveexec_b32 s0, s1
	s_cbranch_execz .LBB10_48
; %bb.47:
	v_cvt_f32_u32_e32 v1, s12
	s_sub_co_i32 s1, 0, s12
	v_mov_b32_e32 v13, 0
	s_delay_alu instid0(VALU_DEP_2) | instskip(SKIP_1) | instid1(TRANS32_DEP_1)
	v_rcp_iflag_f32_e32 v1, v1
	v_nop
	v_mul_f32_e32 v1, 0x4f7ffffe, v1
	s_delay_alu instid0(VALU_DEP_1) | instskip(NEXT) | instid1(VALU_DEP_1)
	v_cvt_u32_f32_e32 v1, v1
	v_mul_lo_u32 v3, s1, v1
	s_delay_alu instid0(VALU_DEP_1) | instskip(NEXT) | instid1(VALU_DEP_1)
	v_mul_hi_u32 v3, v1, v3
	v_add_nc_u32_e32 v1, v1, v3
	s_delay_alu instid0(VALU_DEP_1) | instskip(NEXT) | instid1(VALU_DEP_1)
	v_mul_hi_u32 v1, v6, v1
	v_mul_lo_u32 v3, v1, s12
	s_delay_alu instid0(VALU_DEP_1) | instskip(NEXT) | instid1(VALU_DEP_1)
	v_sub_nc_u32_e32 v3, v6, v3
	v_subrev_nc_u32_e32 v10, s12, v3
	v_cmp_le_u32_e32 vcc_lo, s12, v3
	s_delay_alu instid0(VALU_DEP_2) | instskip(NEXT) | instid1(VALU_DEP_1)
	v_dual_add_nc_u32 v5, 1, v1 :: v_dual_cndmask_b32 v3, v3, v10, vcc_lo
	v_cndmask_b32_e32 v1, v1, v5, vcc_lo
	s_delay_alu instid0(VALU_DEP_2) | instskip(NEXT) | instid1(VALU_DEP_2)
	v_cmp_le_u32_e32 vcc_lo, s12, v3
	v_add_nc_u32_e32 v5, 1, v1
	s_delay_alu instid0(VALU_DEP_1)
	v_cndmask_b32_e32 v12, v1, v5, vcc_lo
.LBB10_48:
	s_or_b32 exec_lo, exec_lo, s0
	v_mul_u64_e32 v[16:17], s[12:13], v[8:9]
	s_delay_alu instid0(VALU_DEP_2) | instskip(SKIP_2) | instid1(VALU_DEP_2)
	v_min_i64 v[10:11], v[12:13], s[2:3]
	s_mov_b32 s14, 0
	s_mov_b32 s15, exec_lo
	v_add_nc_u64_e32 v[12:13], s[10:11], v[16:17]
	v_cmp_gt_i64_e32 vcc_lo, v[16:17], v[6:7]
	s_delay_alu instid0(VALU_DEP_2) | instskip(SKIP_2) | instid1(SALU_CYCLE_1)
	v_cmp_ge_i64_e64 s0, v[6:7], v[12:13]
	v_mov_b32_e32 v13, s14
	s_or_b32 s0, vcc_lo, s0
	v_cndmask_b32_e64 v12, 0, 1, s0
	s_delay_alu instid0(VALU_DEP_1) | instskip(NEXT) | instid1(VALU_DEP_1)
	v_add_nc_u64_e32 v[8:9], v[8:9], v[12:13]
	v_cmpx_le_i64_e64 v[8:9], v[10:11]
	s_cbranch_execz .LBB10_51
; %bb.49:
	global_load_u8 v1, v2, s[4:5]
	v_mul_u64_e32 v[12:13], s[12:13], v[8:9]
	v_mul_u64_e32 v[16:17], s[16:17], v[8:9]
	s_mul_u64 s[0:1], s[12:13], s[18:19]
	s_delay_alu instid0(SALU_CYCLE_1) | instskip(NEXT) | instid1(VALU_DEP_2)
	s_sub_nc_u64 s[0:1], s[16:17], s[0:1]
	v_sub_nc_u64_e32 v[6:7], v[6:7], v[12:13]
	s_delay_alu instid0(VALU_DEP_1) | instskip(NEXT) | instid1(VALU_DEP_1)
	v_mad_nc_u64_u32 v[12:13], s18, v6, v[16:17]
	v_mad_u32 v3, s19, v6, v13
	s_delay_alu instid0(VALU_DEP_1) | instskip(SKIP_1) | instid1(VALU_DEP_1)
	v_mad_u32 v13, s18, v7, v3
	v_mov_b32_e32 v3, 0
	v_mov_b32_e32 v5, v3
	s_wait_xcnt 0x0
	v_add_nc_u64_e32 v[2:3], s[4:5], v[2:3]
	s_delay_alu instid0(VALU_DEP_2) | instskip(SKIP_1) | instid1(VALU_DEP_2)
	v_add_nc_u64_e32 v[6:7], v[12:13], v[4:5]
	v_add_nc_u64_e32 v[4:5], -1, v[8:9]
	v_add_nc_u64_e32 v[6:7], s[6:7], v[6:7]
.LBB10_50:                              ; =>This Inner Loop Header: Depth=1
	global_load_u8 v8, v[6:7], off
	v_add_nc_u64_e32 v[4:5], 1, v[4:5]
	s_wait_xcnt 0x0
	v_add_nc_u64_e32 v[6:7], s[0:1], v[6:7]
	s_delay_alu instid0(VALU_DEP_2)
	v_cmp_ge_i64_e32 vcc_lo, v[4:5], v[10:11]
	s_or_b32 s14, vcc_lo, s14
	s_wait_loadcnt 0x0
	v_or_b32_e32 v1, v8, v1
	global_store_b8 v[2:3], v1, off
	s_wait_xcnt 0x0
	s_and_not1_b32 exec_lo, exec_lo, s14
	s_cbranch_execnz .LBB10_50
.LBB10_51:
	s_or_b32 exec_lo, exec_lo, s15
	v_add_nc_u32_e32 v0, 0x100, v0
	s_or_b32 exec_lo, exec_lo, s29
	s_delay_alu instid0(SALU_CYCLE_1) | instskip(NEXT) | instid1(VALU_DEP_1)
	s_mov_b32 s29, exec_lo
	v_cmpx_gt_i32_e64 s31, v0
	s_cbranch_execz .LBB10_3
.LBB10_52:
	v_cmp_ne_u32_e32 vcc_lo, 1, v14
	s_cbranch_vccnz .LBB10_59
; %bb.53:
	v_dual_mov_b32 v3, 0 :: v_dual_mov_b32 v4, 0
	v_mov_b32_e32 v2, 0
	s_and_not1_b32 vcc_lo, exec_lo, s33
	s_cbranch_vccnz .LBB10_58
; %bb.54:
	v_dual_mov_b32 v2, 0 :: v_dual_mov_b32 v1, v0
	v_dual_mov_b32 v4, 0 :: v_dual_mov_b32 v3, 0
	s_add_co_i32 s14, s22, 1
	s_mov_b64 s[0:1], 0xffffffffffffffe8
	s_and_b32 s14, s14, 30
	s_add_nc_u64 s[0:1], s[40:41], s[0:1]
.LBB10_55:                              ; =>This Inner Loop Header: Depth=1
	s_clause 0x1
	s_load_b128 s[44:47], s[0:1], 0x1c
	s_load_b64 s[42:43], s[0:1], 0x2c
	s_add_co_i32 s14, s14, -2
	s_delay_alu instid0(SALU_CYCLE_1) | instskip(SKIP_2) | instid1(VALU_DEP_1)
	s_cmp_eq_u32 s14, 0
	s_wait_kmcnt 0x0
	v_mul_hi_u32 v5, s45, v1
	v_add_nc_u32_e32 v5, v1, v5
	s_delay_alu instid0(VALU_DEP_1) | instskip(NEXT) | instid1(VALU_DEP_1)
	v_lshrrev_b32_e32 v5, s46, v5
	v_mul_hi_u32 v6, s42, v5
	v_mul_lo_u32 v7, v5, s44
	s_clause 0x1
	s_load_b128 s[48:51], s[0:1], 0xdc
	s_load_b64 s[44:45], s[0:1], 0xec
	s_wait_xcnt 0x0
	s_add_nc_u64 s[0:1], s[0:1], 24
	s_delay_alu instid0(VALU_DEP_2) | instskip(NEXT) | instid1(VALU_DEP_1)
	v_add_nc_u32_e32 v6, v5, v6
	v_dual_sub_nc_u32 v7, v1, v7 :: v_dual_lshrrev_b32 v1, s43, v6
	s_wait_kmcnt 0x0
	s_delay_alu instid0(VALU_DEP_1) | instskip(NEXT) | instid1(VALU_DEP_2)
	v_mad_u32 v2, v7, s48, v2
	v_mul_lo_u32 v6, v1, s47
	v_mad_u32 v3, v7, s50, v3
	v_mad_u32 v4, v7, s49, v4
	s_delay_alu instid0(VALU_DEP_3) | instskip(NEXT) | instid1(VALU_DEP_1)
	v_sub_nc_u32_e32 v5, v5, v6
	v_mad_u32 v2, v5, s51, v2
	s_delay_alu instid0(VALU_DEP_4) | instskip(NEXT) | instid1(VALU_DEP_4)
	v_mad_u32 v3, v5, s45, v3
	v_mad_u32 v4, v5, s44, v4
	s_cbranch_scc0 .LBB10_55
; %bb.56:
	s_bitcmp1_b32 s22, 0
	s_cselect_b32 s14, -1, 0
	s_delay_alu instid0(SALU_CYCLE_1)
	s_and_b32 vcc_lo, exec_lo, s14
	s_cbranch_vccnz .LBB10_58
; %bb.57:
	s_clause 0x1
	s_load_b96 s[44:46], s[0:1], 0x1c
	s_load_b96 s[48:50], s[0:1], 0xdc
	s_wait_kmcnt 0x0
	v_mul_hi_u32 v5, s45, v1
	s_delay_alu instid0(VALU_DEP_1) | instskip(NEXT) | instid1(VALU_DEP_1)
	v_add_nc_u32_e32 v5, v1, v5
	v_lshrrev_b32_e32 v5, s46, v5
	s_delay_alu instid0(VALU_DEP_1) | instskip(NEXT) | instid1(VALU_DEP_1)
	v_mul_lo_u32 v5, v5, s44
	v_sub_nc_u32_e32 v1, v1, v5
	s_delay_alu instid0(VALU_DEP_1)
	v_mad_u32 v2, v1, s48, v2
	v_mad_u32 v4, v1, s49, v4
	;; [unrolled: 1-line block ×3, first 2 shown]
.LBB10_58:
	s_cbranch_execz .LBB10_60
	s_branch .LBB10_62
.LBB10_59:
                                        ; implicit-def: $vgpr3
                                        ; implicit-def: $vgpr4
                                        ; implicit-def: $vgpr2
.LBB10_60:
	v_mov_b32_e32 v1, 0
	s_and_not1_b32 vcc_lo, exec_lo, s20
	s_delay_alu instid0(VALU_DEP_1) | instskip(NEXT) | instid1(VALU_DEP_1)
	v_mul_u64_e32 v[2:3], s[36:37], v[0:1]
	v_add_nc_u32_e32 v2, v0, v3
	s_delay_alu instid0(VALU_DEP_1) | instskip(NEXT) | instid1(VALU_DEP_1)
	v_lshrrev_b32_e32 v6, s23, v2
	v_mul_lo_u32 v2, v6, s21
	s_delay_alu instid0(VALU_DEP_1) | instskip(NEXT) | instid1(VALU_DEP_1)
	v_sub_nc_u32_e32 v4, v0, v2
	v_mul_lo_u32 v2, v4, s24
	v_mul_lo_u32 v3, v4, s26
	;; [unrolled: 1-line block ×3, first 2 shown]
	s_cbranch_vccnz .LBB10_62
; %bb.61:
	v_mov_b32_e32 v7, v1
	s_delay_alu instid0(VALU_DEP_1) | instskip(NEXT) | instid1(VALU_DEP_1)
	v_mul_u64_e32 v[8:9], s[38:39], v[6:7]
	v_add_nc_u32_e32 v1, v6, v9
	s_delay_alu instid0(VALU_DEP_1) | instskip(NEXT) | instid1(VALU_DEP_1)
	v_lshrrev_b32_e32 v1, s30, v1
	v_mul_lo_u32 v1, v1, s28
	s_delay_alu instid0(VALU_DEP_1) | instskip(NEXT) | instid1(VALU_DEP_1)
	v_sub_nc_u32_e32 v1, v6, v1
	v_mad_u32 v2, v1, s27, v2
	v_mad_u32 v4, v1, s34, v4
	;; [unrolled: 1-line block ×3, first 2 shown]
.LBB10_62:
	global_load_b64 v[6:7], v3, s[8:9]
	v_mov_b64_e32 v[8:9], 0
	s_mov_b32 s1, exec_lo
	s_wait_loadcnt 0x0
	v_cmpx_lt_i64_e64 s[10:11], v[6:7]
	s_cbranch_execz .LBB10_68
; %bb.63:
	v_sub_nc_u64_e64 v[12:13], v[6:7], s[10:11]
                                        ; implicit-def: $vgpr8_vgpr9
	s_mov_b32 s0, exec_lo
	s_delay_alu instid0(VALU_DEP_1) | instskip(NEXT) | instid1(VALU_DEP_1)
	v_dual_mov_b32 v10, 0 :: v_dual_bitop2_b32 v11, s13, v13 bitop3:0x54
	v_cmpx_ne_u64_e32 0, v[10:11]
	s_xor_b32 s44, exec_lo, s0
	s_cbranch_execz .LBB10_65
; %bb.64:
	s_ashr_i32 s14, s13, 31
	s_mov_b32 s53, 0
	s_mov_b32 s15, s14
	v_dual_mov_b32 v17, v10 :: v_dual_ashrrev_i32 v8, 31, v13
	s_add_nc_u64 s[42:43], s[12:13], s[14:15]
	v_mov_b32_e32 v19, v10
	s_xor_b64 s[42:43], s[42:43], s[14:15]
	s_delay_alu instid0(VALU_DEP_2)
	v_mov_b32_e32 v9, v8
	s_cvt_f32_u32 s0, s42
	s_cvt_f32_u32 s15, s43
	s_sub_nc_u64 s[48:49], 0, s[42:43]
	v_mov_b32_e32 v25, v10
	v_add_nc_u64_e32 v[12:13], v[12:13], v[8:9]
	s_fmamk_f32 s0, s15, 0x4f800000, s0
	v_mov_b32_e32 v11, v10
	s_delay_alu instid0(SALU_CYCLE_2) | instskip(NEXT) | instid1(VALU_DEP_2)
	v_s_rcp_f32 s0, s0
	v_xor_b32_e32 v16, v12, v8
	s_delay_alu instid0(VALU_DEP_3) | instskip(SKIP_1) | instid1(TRANS32_DEP_1)
	v_xor_b32_e32 v18, v13, v8
	v_xor_b32_e32 v8, s14, v8
	s_mul_f32 s0, s0, 0x5f7ffffc
	s_delay_alu instid0(SALU_CYCLE_3) | instskip(NEXT) | instid1(SALU_CYCLE_3)
	s_mul_f32 s15, s0, 0x2f800000
	s_trunc_f32 s15, s15
	s_delay_alu instid0(SALU_CYCLE_3) | instskip(SKIP_1) | instid1(SALU_CYCLE_2)
	s_fmamk_f32 s0, s15, 0xcf800000, s0
	s_cvt_u32_f32 s47, s15
	s_cvt_u32_f32 s46, s0
	s_delay_alu instid0(SALU_CYCLE_3) | instskip(NEXT) | instid1(SALU_CYCLE_1)
	s_mul_u64 s[50:51], s[48:49], s[46:47]
	s_mul_hi_u32 s55, s46, s51
	s_mul_i32 s54, s46, s51
	s_mul_hi_u32 s52, s46, s50
	s_mul_i32 s15, s47, s50
	s_add_nc_u64 s[54:55], s[52:53], s[54:55]
	s_mul_hi_u32 s0, s47, s50
	s_mul_hi_u32 s45, s47, s51
	s_add_co_u32 s15, s54, s15
	s_add_co_ci_u32 s52, s55, s0
	s_mul_i32 s50, s47, s51
	s_add_co_ci_u32 s51, s45, 0
	s_delay_alu instid0(SALU_CYCLE_1) | instskip(NEXT) | instid1(SALU_CYCLE_1)
	s_add_nc_u64 s[50:51], s[52:53], s[50:51]
	s_add_co_u32 s46, s46, s50
	s_cselect_b32 s0, -1, 0
	s_delay_alu instid0(SALU_CYCLE_1) | instskip(SKIP_1) | instid1(SALU_CYCLE_1)
	s_cmp_lg_u32 s0, 0
	s_add_co_ci_u32 s47, s47, s51
	s_mul_u64 s[48:49], s[48:49], s[46:47]
	s_delay_alu instid0(SALU_CYCLE_1)
	s_mul_hi_u32 s51, s46, s49
	s_mul_i32 s50, s46, s49
	s_mul_hi_u32 s52, s46, s48
	s_mul_i32 s15, s47, s48
	s_add_nc_u64 s[50:51], s[52:53], s[50:51]
	s_mul_hi_u32 s0, s47, s48
	s_mul_hi_u32 s45, s47, s49
	s_add_co_u32 s15, s50, s15
	s_add_co_ci_u32 s52, s51, s0
	s_mul_i32 s48, s47, s49
	s_add_co_ci_u32 s49, s45, 0
	s_delay_alu instid0(SALU_CYCLE_1) | instskip(NEXT) | instid1(SALU_CYCLE_1)
	s_add_nc_u64 s[48:49], s[52:53], s[48:49]
	s_add_co_u32 s0, s46, s48
	s_cselect_b32 s15, -1, 0
	v_mul_hi_u32 v24, v16, s0
	s_cmp_lg_u32 s15, 0
	s_add_co_ci_u32 s52, s47, s49
	s_mov_b64 s[46:47], 0xffffffff
	v_mul_u64_e32 v[20:21], s[52:53], v[16:17]
	s_and_b64 s[46:47], s[0:1], s[46:47]
	v_mul_u64_e32 v[22:23], s[52:53], v[18:19]
	v_mul_u64_e32 v[12:13], s[46:47], v[18:19]
	s_delay_alu instid0(VALU_DEP_3) | instskip(NEXT) | instid1(VALU_DEP_1)
	v_add_nc_u64_e32 v[20:21], v[24:25], v[20:21]
	v_add_co_u32 v1, vcc_lo, v20, v12
	s_delay_alu instid0(VALU_DEP_2) | instskip(SKIP_1) | instid1(VALU_DEP_1)
	v_add_co_ci_u32_e32 v10, vcc_lo, v21, v13, vcc_lo
	v_add_co_ci_u32_e32 v23, vcc_lo, 0, v23, vcc_lo
	v_add_nc_u64_e32 v[10:11], v[10:11], v[22:23]
	s_delay_alu instid0(VALU_DEP_1) | instskip(NEXT) | instid1(VALU_DEP_1)
	v_mul_u64_e32 v[12:13], s[42:43], v[10:11]
	v_sub_nc_u32_e32 v1, v18, v13
	s_delay_alu instid0(VALU_DEP_2) | instskip(NEXT) | instid1(VALU_DEP_1)
	v_sub_co_u32 v3, vcc_lo, v16, v12
	v_sub_co_ci_u32_e64 v9, null, v18, v13, vcc_lo
	s_delay_alu instid0(VALU_DEP_3) | instskip(NEXT) | instid1(VALU_DEP_3)
	v_subrev_co_ci_u32_e64 v1, null, s43, v1, vcc_lo
	v_sub_co_u32 v5, s0, v3, s42
	v_add_nc_u64_e32 v[16:17], 1, v[10:11]
	s_delay_alu instid0(VALU_DEP_3) | instskip(NEXT) | instid1(VALU_DEP_3)
	v_subrev_co_ci_u32_e64 v1, null, 0, v1, s0
	v_cmp_le_u32_e32 vcc_lo, s42, v5
	v_cndmask_b32_e64 v5, 0, -1, vcc_lo
	s_delay_alu instid0(VALU_DEP_3)
	v_cmp_le_u32_e32 vcc_lo, s43, v1
	v_cndmask_b32_e64 v12, 0, -1, vcc_lo
	v_cmp_le_u32_e32 vcc_lo, s42, v3
	v_cndmask_b32_e64 v3, 0, -1, vcc_lo
	v_cmp_le_u32_e32 vcc_lo, s43, v9
	v_cndmask_b32_e64 v15, 0, -1, vcc_lo
	v_cmp_eq_u32_e32 vcc_lo, s43, v1
	v_cndmask_b32_e32 v1, v12, v5, vcc_lo
	v_cmp_eq_u32_e32 vcc_lo, s43, v9
	v_add_nc_u64_e32 v[12:13], 2, v[10:11]
	v_cndmask_b32_e32 v3, v15, v3, vcc_lo
	s_delay_alu instid0(VALU_DEP_4) | instskip(NEXT) | instid1(VALU_DEP_2)
	v_cmp_ne_u32_e32 vcc_lo, 0, v1
	v_cmp_ne_u32_e64 s0, 0, v3
	s_delay_alu instid0(VALU_DEP_4) | instskip(NEXT) | instid1(VALU_DEP_1)
	v_dual_cndmask_b32 v1, v17, v13, vcc_lo :: v_dual_cndmask_b32 v3, v16, v12, vcc_lo
                                        ; implicit-def: $vgpr12_vgpr13
	v_dual_cndmask_b32 v1, v11, v1, s0 :: v_dual_cndmask_b32 v3, v10, v3, s0
	s_delay_alu instid0(VALU_DEP_1) | instskip(NEXT) | instid1(VALU_DEP_2)
	v_dual_mov_b32 v9, v8 :: v_dual_bitop2_b32 v11, v1, v8 bitop3:0x14
	v_xor_b32_e32 v10, v3, v8
	s_delay_alu instid0(VALU_DEP_1)
	v_sub_nc_u64_e32 v[8:9], v[10:11], v[8:9]
.LBB10_65:
	s_and_not1_saveexec_b32 s0, s44
	s_cbranch_execz .LBB10_67
; %bb.66:
	v_cvt_f32_u32_e32 v1, s12
	s_sub_co_i32 s14, 0, s12
	v_mov_b32_e32 v9, 0
	s_delay_alu instid0(VALU_DEP_2) | instskip(SKIP_1) | instid1(TRANS32_DEP_1)
	v_rcp_iflag_f32_e32 v1, v1
	v_nop
	v_mul_f32_e32 v1, 0x4f7ffffe, v1
	s_delay_alu instid0(VALU_DEP_1) | instskip(NEXT) | instid1(VALU_DEP_1)
	v_cvt_u32_f32_e32 v1, v1
	v_mul_lo_u32 v3, s14, v1
	s_delay_alu instid0(VALU_DEP_1) | instskip(NEXT) | instid1(VALU_DEP_1)
	v_mul_hi_u32 v3, v1, v3
	v_add_nc_u32_e32 v1, v1, v3
	s_delay_alu instid0(VALU_DEP_1) | instskip(NEXT) | instid1(VALU_DEP_1)
	v_mul_hi_u32 v1, v12, v1
	v_mul_lo_u32 v3, v1, s12
	s_delay_alu instid0(VALU_DEP_1) | instskip(NEXT) | instid1(VALU_DEP_1)
	v_sub_nc_u32_e32 v3, v12, v3
	v_subrev_nc_u32_e32 v8, s12, v3
	v_cmp_le_u32_e32 vcc_lo, s12, v3
	s_delay_alu instid0(VALU_DEP_2) | instskip(NEXT) | instid1(VALU_DEP_1)
	v_dual_add_nc_u32 v5, 1, v1 :: v_dual_cndmask_b32 v3, v3, v8, vcc_lo
	v_cndmask_b32_e32 v1, v1, v5, vcc_lo
	s_delay_alu instid0(VALU_DEP_2) | instskip(NEXT) | instid1(VALU_DEP_2)
	v_cmp_le_u32_e32 vcc_lo, s12, v3
	v_add_nc_u32_e32 v5, 1, v1
	s_delay_alu instid0(VALU_DEP_1)
	v_cndmask_b32_e32 v8, v1, v5, vcc_lo
.LBB10_67:
	s_or_b32 exec_lo, exec_lo, s0
.LBB10_68:
	s_delay_alu instid0(SALU_CYCLE_1) | instskip(SKIP_2) | instid1(VALU_DEP_1)
	s_or_b32 exec_lo, exec_lo, s1
	v_dual_mov_b32 v10, 0 :: v_dual_bitop2_b32 v11, s13, v7 bitop3:0x54
                                        ; implicit-def: $vgpr12_vgpr13
	s_mov_b32 s0, exec_lo
	v_cmpx_ne_u64_e32 0, v[10:11]
	s_xor_b32 s1, exec_lo, s0
	s_cbranch_execz .LBB10_70
; %bb.69:
	s_ashr_i32 s14, s13, 31
	s_mov_b32 s51, 0
	s_mov_b32 s15, s14
	v_dual_mov_b32 v19, v10 :: v_dual_ashrrev_i32 v12, 31, v7
	s_add_nc_u64 s[42:43], s[12:13], s[14:15]
	v_mov_b32_e32 v21, v10
	s_xor_b64 s[42:43], s[42:43], s[14:15]
	s_delay_alu instid0(VALU_DEP_2)
	v_mov_b32_e32 v13, v12
	s_cvt_f32_u32 s0, s42
	s_cvt_f32_u32 s15, s43
	s_sub_nc_u64 s[46:47], 0, s[42:43]
	v_mov_b32_e32 v27, v10
	v_add_nc_u64_e32 v[16:17], v[6:7], v[12:13]
	s_fmamk_f32 s0, s15, 0x4f800000, s0
	v_mov_b32_e32 v11, v10
	s_delay_alu instid0(SALU_CYCLE_2) | instskip(NEXT) | instid1(VALU_DEP_2)
	v_s_rcp_f32 s0, s0
	v_xor_b32_e32 v18, v16, v12
	s_delay_alu instid0(VALU_DEP_3) | instskip(SKIP_1) | instid1(TRANS32_DEP_1)
	v_xor_b32_e32 v20, v17, v12
	v_xor_b32_e32 v12, s14, v12
	s_mul_f32 s0, s0, 0x5f7ffffc
	s_delay_alu instid0(SALU_CYCLE_3) | instskip(NEXT) | instid1(SALU_CYCLE_3)
	s_mul_f32 s15, s0, 0x2f800000
	s_trunc_f32 s15, s15
	s_delay_alu instid0(SALU_CYCLE_3) | instskip(SKIP_1) | instid1(SALU_CYCLE_2)
	s_fmamk_f32 s0, s15, 0xcf800000, s0
	s_cvt_u32_f32 s45, s15
	s_cvt_u32_f32 s44, s0
	s_delay_alu instid0(SALU_CYCLE_3) | instskip(NEXT) | instid1(SALU_CYCLE_1)
	s_mul_u64 s[48:49], s[46:47], s[44:45]
	s_mul_hi_u32 s53, s44, s49
	s_mul_i32 s52, s44, s49
	s_mul_hi_u32 s50, s44, s48
	s_mul_i32 s15, s45, s48
	s_add_nc_u64 s[52:53], s[50:51], s[52:53]
	s_mul_hi_u32 s0, s45, s48
	s_mul_hi_u32 s54, s45, s49
	s_add_co_u32 s15, s52, s15
	s_add_co_ci_u32 s50, s53, s0
	s_mul_i32 s48, s45, s49
	s_add_co_ci_u32 s49, s54, 0
	s_delay_alu instid0(SALU_CYCLE_1) | instskip(NEXT) | instid1(SALU_CYCLE_1)
	s_add_nc_u64 s[48:49], s[50:51], s[48:49]
	s_add_co_u32 s44, s44, s48
	s_cselect_b32 s0, -1, 0
	s_delay_alu instid0(SALU_CYCLE_1) | instskip(SKIP_1) | instid1(SALU_CYCLE_1)
	s_cmp_lg_u32 s0, 0
	s_add_co_ci_u32 s45, s45, s49
	s_mul_u64 s[46:47], s[46:47], s[44:45]
	s_delay_alu instid0(SALU_CYCLE_1)
	s_mul_hi_u32 s49, s44, s47
	s_mul_i32 s48, s44, s47
	s_mul_hi_u32 s50, s44, s46
	s_mul_i32 s15, s45, s46
	s_add_nc_u64 s[48:49], s[50:51], s[48:49]
	s_mul_hi_u32 s0, s45, s46
	s_mul_hi_u32 s52, s45, s47
	s_add_co_u32 s15, s48, s15
	s_add_co_ci_u32 s50, s49, s0
	s_mul_i32 s46, s45, s47
	s_add_co_ci_u32 s47, s52, 0
	s_delay_alu instid0(SALU_CYCLE_1) | instskip(NEXT) | instid1(SALU_CYCLE_1)
	s_add_nc_u64 s[46:47], s[50:51], s[46:47]
	s_add_co_u32 s0, s44, s46
	s_cselect_b32 s15, -1, 0
	v_mul_hi_u32 v26, v18, s0
	s_cmp_lg_u32 s15, 0
	s_add_co_ci_u32 s50, s45, s47
	s_mov_b64 s[44:45], 0xffffffff
	v_mul_u64_e32 v[22:23], s[50:51], v[18:19]
	s_and_b64 s[44:45], s[0:1], s[44:45]
	v_mul_u64_e32 v[24:25], s[50:51], v[20:21]
	v_mul_u64_e32 v[16:17], s[44:45], v[20:21]
	s_delay_alu instid0(VALU_DEP_3) | instskip(NEXT) | instid1(VALU_DEP_1)
	v_add_nc_u64_e32 v[22:23], v[26:27], v[22:23]
	v_add_co_u32 v1, vcc_lo, v22, v16
	s_delay_alu instid0(VALU_DEP_2) | instskip(SKIP_1) | instid1(VALU_DEP_1)
	v_add_co_ci_u32_e32 v10, vcc_lo, v23, v17, vcc_lo
	v_add_co_ci_u32_e32 v25, vcc_lo, 0, v25, vcc_lo
	v_add_nc_u64_e32 v[10:11], v[10:11], v[24:25]
	s_delay_alu instid0(VALU_DEP_1) | instskip(NEXT) | instid1(VALU_DEP_1)
	v_mul_u64_e32 v[16:17], s[42:43], v[10:11]
	v_sub_nc_u32_e32 v1, v20, v17
	s_delay_alu instid0(VALU_DEP_2) | instskip(NEXT) | instid1(VALU_DEP_1)
	v_sub_co_u32 v3, vcc_lo, v18, v16
	v_sub_co_ci_u32_e64 v13, null, v20, v17, vcc_lo
	s_delay_alu instid0(VALU_DEP_3) | instskip(NEXT) | instid1(VALU_DEP_3)
	v_subrev_co_ci_u32_e64 v1, null, s43, v1, vcc_lo
	v_sub_co_u32 v5, s0, v3, s42
	v_add_nc_u64_e32 v[16:17], 2, v[10:11]
	s_delay_alu instid0(VALU_DEP_3) | instskip(NEXT) | instid1(VALU_DEP_3)
	v_subrev_co_ci_u32_e64 v1, null, 0, v1, s0
	v_cmp_le_u32_e32 vcc_lo, s42, v5
	v_add_nc_u64_e32 v[18:19], 1, v[10:11]
	v_cndmask_b32_e64 v5, 0, -1, vcc_lo
	s_delay_alu instid0(VALU_DEP_4)
	v_cmp_le_u32_e32 vcc_lo, s43, v1
	v_cndmask_b32_e64 v15, 0, -1, vcc_lo
	v_cmp_le_u32_e32 vcc_lo, s42, v3
	v_cndmask_b32_e64 v3, 0, -1, vcc_lo
	v_cmp_le_u32_e32 vcc_lo, s43, v13
	v_cndmask_b32_e64 v20, 0, -1, vcc_lo
	v_cmp_eq_u32_e32 vcc_lo, s43, v1
	v_cndmask_b32_e32 v1, v15, v5, vcc_lo
	v_cmp_eq_u32_e32 vcc_lo, s43, v13
	s_delay_alu instid0(VALU_DEP_4) | instskip(NEXT) | instid1(VALU_DEP_3)
	v_cndmask_b32_e32 v3, v20, v3, vcc_lo
	v_cmp_ne_u32_e32 vcc_lo, 0, v1
	s_delay_alu instid0(VALU_DEP_2) | instskip(SKIP_1) | instid1(VALU_DEP_1)
	v_cmp_ne_u32_e64 s0, 0, v3
	v_dual_cndmask_b32 v1, v19, v17, vcc_lo :: v_dual_cndmask_b32 v3, v18, v16, vcc_lo
	v_dual_cndmask_b32 v1, v11, v1, s0 :: v_dual_cndmask_b32 v3, v10, v3, s0
	s_delay_alu instid0(VALU_DEP_1) | instskip(NEXT) | instid1(VALU_DEP_2)
	v_dual_mov_b32 v13, v12 :: v_dual_bitop2_b32 v11, v1, v12 bitop3:0x14
	v_xor_b32_e32 v10, v3, v12
	s_delay_alu instid0(VALU_DEP_1)
	v_sub_nc_u64_e32 v[12:13], v[10:11], v[12:13]
.LBB10_70:
	s_and_not1_saveexec_b32 s0, s1
	s_cbranch_execz .LBB10_72
; %bb.71:
	v_cvt_f32_u32_e32 v1, s12
	s_sub_co_i32 s1, 0, s12
	v_mov_b32_e32 v13, 0
	s_delay_alu instid0(VALU_DEP_2) | instskip(SKIP_1) | instid1(TRANS32_DEP_1)
	v_rcp_iflag_f32_e32 v1, v1
	v_nop
	v_mul_f32_e32 v1, 0x4f7ffffe, v1
	s_delay_alu instid0(VALU_DEP_1) | instskip(NEXT) | instid1(VALU_DEP_1)
	v_cvt_u32_f32_e32 v1, v1
	v_mul_lo_u32 v3, s1, v1
	s_delay_alu instid0(VALU_DEP_1) | instskip(NEXT) | instid1(VALU_DEP_1)
	v_mul_hi_u32 v3, v1, v3
	v_add_nc_u32_e32 v1, v1, v3
	s_delay_alu instid0(VALU_DEP_1) | instskip(NEXT) | instid1(VALU_DEP_1)
	v_mul_hi_u32 v1, v6, v1
	v_mul_lo_u32 v3, v1, s12
	s_delay_alu instid0(VALU_DEP_1) | instskip(NEXT) | instid1(VALU_DEP_1)
	v_sub_nc_u32_e32 v3, v6, v3
	v_subrev_nc_u32_e32 v10, s12, v3
	v_cmp_le_u32_e32 vcc_lo, s12, v3
	s_delay_alu instid0(VALU_DEP_2) | instskip(NEXT) | instid1(VALU_DEP_1)
	v_dual_add_nc_u32 v5, 1, v1 :: v_dual_cndmask_b32 v3, v3, v10, vcc_lo
	v_cndmask_b32_e32 v1, v1, v5, vcc_lo
	s_delay_alu instid0(VALU_DEP_2) | instskip(NEXT) | instid1(VALU_DEP_2)
	v_cmp_le_u32_e32 vcc_lo, s12, v3
	v_add_nc_u32_e32 v5, 1, v1
	s_delay_alu instid0(VALU_DEP_1)
	v_cndmask_b32_e32 v12, v1, v5, vcc_lo
.LBB10_72:
	s_or_b32 exec_lo, exec_lo, s0
	v_mul_u64_e32 v[16:17], s[12:13], v[8:9]
	s_delay_alu instid0(VALU_DEP_2) | instskip(SKIP_2) | instid1(VALU_DEP_2)
	v_min_i64 v[10:11], v[12:13], s[2:3]
	s_mov_b32 s14, 0
	s_mov_b32 s15, exec_lo
	v_add_nc_u64_e32 v[12:13], s[10:11], v[16:17]
	v_cmp_gt_i64_e32 vcc_lo, v[16:17], v[6:7]
	s_delay_alu instid0(VALU_DEP_2) | instskip(SKIP_2) | instid1(SALU_CYCLE_1)
	v_cmp_ge_i64_e64 s0, v[6:7], v[12:13]
	v_mov_b32_e32 v13, s14
	s_or_b32 s0, vcc_lo, s0
	v_cndmask_b32_e64 v12, 0, 1, s0
	s_delay_alu instid0(VALU_DEP_1) | instskip(NEXT) | instid1(VALU_DEP_1)
	v_add_nc_u64_e32 v[8:9], v[8:9], v[12:13]
	v_cmpx_le_i64_e64 v[8:9], v[10:11]
	s_cbranch_execz .LBB10_75
; %bb.73:
	global_load_u8 v1, v2, s[4:5]
	v_mul_u64_e32 v[12:13], s[12:13], v[8:9]
	v_mul_u64_e32 v[16:17], s[16:17], v[8:9]
	s_mul_u64 s[0:1], s[12:13], s[18:19]
	s_delay_alu instid0(SALU_CYCLE_1) | instskip(NEXT) | instid1(VALU_DEP_2)
	s_sub_nc_u64 s[0:1], s[16:17], s[0:1]
	v_sub_nc_u64_e32 v[6:7], v[6:7], v[12:13]
	s_delay_alu instid0(VALU_DEP_1) | instskip(NEXT) | instid1(VALU_DEP_1)
	v_mad_nc_u64_u32 v[12:13], s18, v6, v[16:17]
	v_mad_u32 v3, s19, v6, v13
	s_delay_alu instid0(VALU_DEP_1) | instskip(SKIP_1) | instid1(VALU_DEP_1)
	v_mad_u32 v13, s18, v7, v3
	v_mov_b32_e32 v3, 0
	v_mov_b32_e32 v5, v3
	s_wait_xcnt 0x0
	v_add_nc_u64_e32 v[2:3], s[4:5], v[2:3]
	s_delay_alu instid0(VALU_DEP_2) | instskip(SKIP_1) | instid1(VALU_DEP_2)
	v_add_nc_u64_e32 v[6:7], v[12:13], v[4:5]
	v_add_nc_u64_e32 v[4:5], -1, v[8:9]
	v_add_nc_u64_e32 v[6:7], s[6:7], v[6:7]
.LBB10_74:                              ; =>This Inner Loop Header: Depth=1
	global_load_u8 v8, v[6:7], off
	v_add_nc_u64_e32 v[4:5], 1, v[4:5]
	s_wait_xcnt 0x0
	v_add_nc_u64_e32 v[6:7], s[0:1], v[6:7]
	s_delay_alu instid0(VALU_DEP_2)
	v_cmp_ge_i64_e32 vcc_lo, v[4:5], v[10:11]
	s_or_b32 s14, vcc_lo, s14
	s_wait_loadcnt 0x0
	v_or_b32_e32 v1, v8, v1
	global_store_b8 v[2:3], v1, off
	s_wait_xcnt 0x0
	s_and_not1_b32 exec_lo, exec_lo, s14
	s_cbranch_execnz .LBB10_74
.LBB10_75:
	s_or_b32 exec_lo, exec_lo, s15
	v_add_nc_u32_e32 v0, 0x100, v0
	s_or_b32 exec_lo, exec_lo, s29
	s_delay_alu instid0(SALU_CYCLE_1) | instskip(NEXT) | instid1(VALU_DEP_1)
	s_mov_b32 s0, exec_lo
	v_cmpx_gt_i32_e64 s31, v0
	s_cbranch_execz .LBB10_99
.LBB10_76:
	v_cmp_ne_u32_e32 vcc_lo, 1, v14
	s_cbranch_vccnz .LBB10_83
; %bb.77:
	v_dual_mov_b32 v3, 0 :: v_dual_mov_b32 v4, 0
	v_mov_b32_e32 v2, 0
	s_and_not1_b32 vcc_lo, exec_lo, s33
	s_cbranch_vccnz .LBB10_82
; %bb.78:
	v_dual_mov_b32 v2, 0 :: v_dual_mov_b32 v1, v0
	v_dual_mov_b32 v4, 0 :: v_dual_mov_b32 v3, 0
	s_add_co_i32 s14, s22, 1
	s_mov_b64 s[0:1], 0xffffffffffffffe8
	s_and_b32 s14, s14, 30
	s_add_nc_u64 s[0:1], s[40:41], s[0:1]
.LBB10_79:                              ; =>This Inner Loop Header: Depth=1
	s_clause 0x1
	s_load_b128 s[40:43], s[0:1], 0x1c
	s_load_b64 s[48:49], s[0:1], 0x2c
	s_add_co_i32 s14, s14, -2
	s_delay_alu instid0(SALU_CYCLE_1) | instskip(SKIP_2) | instid1(VALU_DEP_1)
	s_cmp_eq_u32 s14, 0
	s_wait_kmcnt 0x0
	v_mul_hi_u32 v5, s41, v1
	v_add_nc_u32_e32 v5, v1, v5
	s_delay_alu instid0(VALU_DEP_1) | instskip(NEXT) | instid1(VALU_DEP_1)
	v_lshrrev_b32_e32 v5, s42, v5
	v_mul_hi_u32 v6, s48, v5
	v_mul_lo_u32 v7, v5, s40
	s_clause 0x1
	s_load_b128 s[44:47], s[0:1], 0xdc
	s_load_b64 s[40:41], s[0:1], 0xec
	s_wait_xcnt 0x0
	s_add_nc_u64 s[0:1], s[0:1], 24
	s_delay_alu instid0(VALU_DEP_2) | instskip(NEXT) | instid1(VALU_DEP_1)
	v_add_nc_u32_e32 v6, v5, v6
	v_dual_sub_nc_u32 v7, v1, v7 :: v_dual_lshrrev_b32 v1, s49, v6
	s_wait_kmcnt 0x0
	s_delay_alu instid0(VALU_DEP_1) | instskip(NEXT) | instid1(VALU_DEP_2)
	v_mad_u32 v2, v7, s44, v2
	v_mul_lo_u32 v6, v1, s43
	v_mad_u32 v3, v7, s46, v3
	v_mad_u32 v4, v7, s45, v4
	s_delay_alu instid0(VALU_DEP_3) | instskip(NEXT) | instid1(VALU_DEP_1)
	v_sub_nc_u32_e32 v5, v5, v6
	v_mad_u32 v2, v5, s47, v2
	s_delay_alu instid0(VALU_DEP_4) | instskip(NEXT) | instid1(VALU_DEP_4)
	v_mad_u32 v3, v5, s41, v3
	v_mad_u32 v4, v5, s40, v4
	s_cbranch_scc0 .LBB10_79
; %bb.80:
	s_bitcmp1_b32 s22, 0
	s_cselect_b32 s14, -1, 0
	s_delay_alu instid0(SALU_CYCLE_1)
	s_and_b32 vcc_lo, exec_lo, s14
	s_cbranch_vccnz .LBB10_82
; %bb.81:
	s_clause 0x1
	s_load_b96 s[40:42], s[0:1], 0x1c
	s_load_b96 s[44:46], s[0:1], 0xdc
	s_wait_kmcnt 0x0
	v_mul_hi_u32 v5, s41, v1
	s_delay_alu instid0(VALU_DEP_1) | instskip(NEXT) | instid1(VALU_DEP_1)
	v_add_nc_u32_e32 v5, v1, v5
	v_lshrrev_b32_e32 v5, s42, v5
	s_delay_alu instid0(VALU_DEP_1) | instskip(NEXT) | instid1(VALU_DEP_1)
	v_mul_lo_u32 v5, v5, s40
	v_sub_nc_u32_e32 v1, v1, v5
	s_delay_alu instid0(VALU_DEP_1)
	v_mad_u32 v2, v1, s44, v2
	v_mad_u32 v4, v1, s45, v4
	;; [unrolled: 1-line block ×3, first 2 shown]
.LBB10_82:
	s_cbranch_execz .LBB10_84
	s_branch .LBB10_86
.LBB10_83:
                                        ; implicit-def: $vgpr3
                                        ; implicit-def: $vgpr4
                                        ; implicit-def: $vgpr2
.LBB10_84:
	v_mov_b32_e32 v1, 0
	s_and_not1_b32 vcc_lo, exec_lo, s20
	s_delay_alu instid0(VALU_DEP_1) | instskip(NEXT) | instid1(VALU_DEP_1)
	v_mul_u64_e32 v[2:3], s[36:37], v[0:1]
	v_add_nc_u32_e32 v2, v0, v3
	s_delay_alu instid0(VALU_DEP_1) | instskip(NEXT) | instid1(VALU_DEP_1)
	v_lshrrev_b32_e32 v6, s23, v2
	v_mul_lo_u32 v2, v6, s21
	s_delay_alu instid0(VALU_DEP_1) | instskip(NEXT) | instid1(VALU_DEP_1)
	v_sub_nc_u32_e32 v0, v0, v2
	v_mul_lo_u32 v2, v0, s24
	v_mul_lo_u32 v3, v0, s26
	v_mul_lo_u32 v4, v0, s25
	s_cbranch_vccnz .LBB10_86
; %bb.85:
	v_mov_b32_e32 v7, v1
	s_delay_alu instid0(VALU_DEP_1) | instskip(NEXT) | instid1(VALU_DEP_1)
	v_mul_u64_e32 v[0:1], s[38:39], v[6:7]
	v_add_nc_u32_e32 v0, v6, v1
	s_delay_alu instid0(VALU_DEP_1) | instskip(NEXT) | instid1(VALU_DEP_1)
	v_lshrrev_b32_e32 v0, s30, v0
	v_mul_lo_u32 v0, v0, s28
	s_delay_alu instid0(VALU_DEP_1) | instskip(NEXT) | instid1(VALU_DEP_1)
	v_sub_nc_u32_e32 v0, v6, v0
	v_mad_u32 v2, v0, s27, v2
	v_mad_u32 v4, v0, s34, v4
	;; [unrolled: 1-line block ×3, first 2 shown]
.LBB10_86:
	global_load_b64 v[0:1], v3, s[8:9]
	v_mov_b64_e32 v[6:7], 0
	s_mov_b32 s1, exec_lo
	s_wait_loadcnt 0x0
	v_cmpx_lt_i64_e64 s[10:11], v[0:1]
	s_cbranch_execz .LBB10_92
; %bb.87:
	v_sub_nc_u64_e64 v[10:11], v[0:1], s[10:11]
                                        ; implicit-def: $vgpr6_vgpr7
	s_mov_b32 s0, exec_lo
	s_delay_alu instid0(VALU_DEP_1) | instskip(NEXT) | instid1(VALU_DEP_1)
	v_dual_mov_b32 v8, 0 :: v_dual_bitop2_b32 v9, s13, v11 bitop3:0x54
	v_cmpx_ne_u64_e32 0, v[8:9]
	s_xor_b32 s20, exec_lo, s0
	s_cbranch_execz .LBB10_89
; %bb.88:
	s_ashr_i32 s8, s13, 31
	s_mov_b32 s29, 0
	s_mov_b32 s9, s8
	v_dual_mov_b32 v13, v8 :: v_dual_ashrrev_i32 v6, 31, v11
	s_add_nc_u64 s[14:15], s[12:13], s[8:9]
	v_mov_b32_e32 v15, v8
	s_xor_b64 s[14:15], s[14:15], s[8:9]
	s_delay_alu instid0(VALU_DEP_2)
	v_mov_b32_e32 v7, v6
	s_cvt_f32_u32 s0, s14
	s_cvt_f32_u32 s9, s15
	s_sub_nc_u64 s[24:25], 0, s[14:15]
	v_mov_b32_e32 v21, v8
	v_add_nc_u64_e32 v[10:11], v[10:11], v[6:7]
	s_fmamk_f32 s0, s9, 0x4f800000, s0
	v_mov_b32_e32 v9, v8
	s_delay_alu instid0(SALU_CYCLE_2) | instskip(NEXT) | instid1(VALU_DEP_2)
	v_s_rcp_f32 s0, s0
	v_xor_b32_e32 v12, v10, v6
	s_delay_alu instid0(VALU_DEP_3) | instskip(SKIP_1) | instid1(TRANS32_DEP_1)
	v_xor_b32_e32 v14, v11, v6
	v_xor_b32_e32 v6, s8, v6
	s_mul_f32 s0, s0, 0x5f7ffffc
	s_delay_alu instid0(SALU_CYCLE_3) | instskip(NEXT) | instid1(SALU_CYCLE_3)
	s_mul_f32 s9, s0, 0x2f800000
	s_trunc_f32 s9, s9
	s_delay_alu instid0(SALU_CYCLE_3) | instskip(SKIP_1) | instid1(SALU_CYCLE_2)
	s_fmamk_f32 s0, s9, 0xcf800000, s0
	s_cvt_u32_f32 s23, s9
	s_cvt_u32_f32 s22, s0
	s_delay_alu instid0(SALU_CYCLE_3) | instskip(NEXT) | instid1(SALU_CYCLE_1)
	s_mul_u64 s[26:27], s[24:25], s[22:23]
	s_mul_hi_u32 s31, s22, s27
	s_mul_i32 s30, s22, s27
	s_mul_hi_u32 s28, s22, s26
	s_mul_i32 s9, s23, s26
	s_add_nc_u64 s[30:31], s[28:29], s[30:31]
	s_mul_hi_u32 s0, s23, s26
	s_mul_hi_u32 s21, s23, s27
	s_add_co_u32 s9, s30, s9
	s_add_co_ci_u32 s28, s31, s0
	s_mul_i32 s26, s23, s27
	s_add_co_ci_u32 s27, s21, 0
	s_delay_alu instid0(SALU_CYCLE_1) | instskip(NEXT) | instid1(SALU_CYCLE_1)
	s_add_nc_u64 s[26:27], s[28:29], s[26:27]
	s_add_co_u32 s22, s22, s26
	s_cselect_b32 s0, -1, 0
	s_delay_alu instid0(SALU_CYCLE_1) | instskip(SKIP_1) | instid1(SALU_CYCLE_1)
	s_cmp_lg_u32 s0, 0
	s_add_co_ci_u32 s23, s23, s27
	s_mul_u64 s[24:25], s[24:25], s[22:23]
	s_delay_alu instid0(SALU_CYCLE_1)
	s_mul_hi_u32 s27, s22, s25
	s_mul_i32 s26, s22, s25
	s_mul_hi_u32 s28, s22, s24
	s_mul_i32 s9, s23, s24
	s_add_nc_u64 s[26:27], s[28:29], s[26:27]
	s_mul_hi_u32 s0, s23, s24
	s_mul_hi_u32 s21, s23, s25
	s_add_co_u32 s9, s26, s9
	s_add_co_ci_u32 s28, s27, s0
	s_mul_i32 s24, s23, s25
	s_add_co_ci_u32 s25, s21, 0
	s_delay_alu instid0(SALU_CYCLE_1) | instskip(NEXT) | instid1(SALU_CYCLE_1)
	s_add_nc_u64 s[24:25], s[28:29], s[24:25]
	s_add_co_u32 s0, s22, s24
	s_cselect_b32 s9, -1, 0
	v_mul_hi_u32 v20, v12, s0
	s_cmp_lg_u32 s9, 0
	s_add_co_ci_u32 s28, s23, s25
	s_mov_b64 s[22:23], 0xffffffff
	v_mul_u64_e32 v[16:17], s[28:29], v[12:13]
	s_and_b64 s[22:23], s[0:1], s[22:23]
	v_mul_u64_e32 v[18:19], s[28:29], v[14:15]
	v_mul_u64_e32 v[10:11], s[22:23], v[14:15]
	s_delay_alu instid0(VALU_DEP_3) | instskip(NEXT) | instid1(VALU_DEP_1)
	v_add_nc_u64_e32 v[16:17], v[20:21], v[16:17]
	v_add_co_u32 v3, vcc_lo, v16, v10
	s_delay_alu instid0(VALU_DEP_2) | instskip(SKIP_1) | instid1(VALU_DEP_1)
	v_add_co_ci_u32_e32 v8, vcc_lo, v17, v11, vcc_lo
	v_add_co_ci_u32_e32 v19, vcc_lo, 0, v19, vcc_lo
	v_add_nc_u64_e32 v[8:9], v[8:9], v[18:19]
	s_delay_alu instid0(VALU_DEP_1) | instskip(NEXT) | instid1(VALU_DEP_1)
	v_mul_u64_e32 v[10:11], s[14:15], v[8:9]
	v_sub_nc_u32_e32 v3, v14, v11
	s_delay_alu instid0(VALU_DEP_2) | instskip(NEXT) | instid1(VALU_DEP_1)
	v_sub_co_u32 v5, vcc_lo, v12, v10
	v_sub_co_ci_u32_e64 v14, null, v14, v11, vcc_lo
	s_delay_alu instid0(VALU_DEP_3) | instskip(NEXT) | instid1(VALU_DEP_3)
	v_subrev_co_ci_u32_e64 v3, null, s15, v3, vcc_lo
	v_sub_co_u32 v7, s0, v5, s14
	v_add_nc_u64_e32 v[12:13], 1, v[8:9]
	s_delay_alu instid0(VALU_DEP_3) | instskip(NEXT) | instid1(VALU_DEP_3)
	v_subrev_co_ci_u32_e64 v3, null, 0, v3, s0
	v_cmp_le_u32_e32 vcc_lo, s14, v7
	v_cndmask_b32_e64 v7, 0, -1, vcc_lo
	s_delay_alu instid0(VALU_DEP_3)
	v_cmp_le_u32_e32 vcc_lo, s15, v3
	v_cndmask_b32_e64 v10, 0, -1, vcc_lo
	v_cmp_le_u32_e32 vcc_lo, s14, v5
	v_cndmask_b32_e64 v5, 0, -1, vcc_lo
	;; [unrolled: 2-line block ×3, first 2 shown]
	v_cmp_eq_u32_e32 vcc_lo, s15, v3
	v_cndmask_b32_e32 v3, v10, v7, vcc_lo
	v_cmp_eq_u32_e32 vcc_lo, s15, v14
	v_add_nc_u64_e32 v[10:11], 2, v[8:9]
	v_cndmask_b32_e32 v5, v15, v5, vcc_lo
	s_delay_alu instid0(VALU_DEP_4) | instskip(NEXT) | instid1(VALU_DEP_2)
	v_cmp_ne_u32_e32 vcc_lo, 0, v3
	v_cmp_ne_u32_e64 s0, 0, v5
	s_delay_alu instid0(VALU_DEP_4) | instskip(NEXT) | instid1(VALU_DEP_1)
	v_dual_cndmask_b32 v3, v13, v11, vcc_lo :: v_dual_cndmask_b32 v5, v12, v10, vcc_lo
                                        ; implicit-def: $vgpr10_vgpr11
	v_dual_cndmask_b32 v3, v9, v3, s0 :: v_dual_cndmask_b32 v5, v8, v5, s0
	s_delay_alu instid0(VALU_DEP_1) | instskip(NEXT) | instid1(VALU_DEP_2)
	v_dual_mov_b32 v7, v6 :: v_dual_bitop2_b32 v9, v3, v6 bitop3:0x14
	v_xor_b32_e32 v8, v5, v6
	s_delay_alu instid0(VALU_DEP_1)
	v_sub_nc_u64_e32 v[6:7], v[8:9], v[6:7]
.LBB10_89:
	s_and_not1_saveexec_b32 s0, s20
	s_cbranch_execz .LBB10_91
; %bb.90:
	v_cvt_f32_u32_e32 v3, s12
	s_sub_co_i32 s8, 0, s12
	s_delay_alu instid0(VALU_DEP_1) | instskip(SKIP_1) | instid1(TRANS32_DEP_1)
	v_rcp_iflag_f32_e32 v3, v3
	v_nop
	v_mul_f32_e32 v3, 0x4f7ffffe, v3
	s_delay_alu instid0(VALU_DEP_1) | instskip(NEXT) | instid1(VALU_DEP_1)
	v_cvt_u32_f32_e32 v3, v3
	v_mul_lo_u32 v5, s8, v3
	s_delay_alu instid0(VALU_DEP_1) | instskip(NEXT) | instid1(VALU_DEP_1)
	v_mul_hi_u32 v5, v3, v5
	v_add_nc_u32_e32 v3, v3, v5
	s_delay_alu instid0(VALU_DEP_1) | instskip(NEXT) | instid1(VALU_DEP_1)
	v_mul_hi_u32 v3, v10, v3
	v_mul_lo_u32 v5, v3, s12
	s_delay_alu instid0(VALU_DEP_1) | instskip(NEXT) | instid1(VALU_DEP_1)
	v_dual_add_nc_u32 v6, 1, v3 :: v_dual_sub_nc_u32 v5, v10, v5
	v_subrev_nc_u32_e32 v7, s12, v5
	v_cmp_le_u32_e32 vcc_lo, s12, v5
	s_delay_alu instid0(VALU_DEP_2) | instskip(NEXT) | instid1(VALU_DEP_4)
	v_dual_cndmask_b32 v5, v5, v7, vcc_lo :: v_dual_mov_b32 v7, 0
	v_cndmask_b32_e32 v3, v3, v6, vcc_lo
	s_delay_alu instid0(VALU_DEP_2) | instskip(NEXT) | instid1(VALU_DEP_2)
	v_cmp_le_u32_e32 vcc_lo, s12, v5
	v_add_nc_u32_e32 v6, 1, v3
	s_delay_alu instid0(VALU_DEP_1)
	v_cndmask_b32_e32 v6, v3, v6, vcc_lo
.LBB10_91:
	s_or_b32 exec_lo, exec_lo, s0
.LBB10_92:
	s_delay_alu instid0(SALU_CYCLE_1) | instskip(SKIP_2) | instid1(VALU_DEP_1)
	s_or_b32 exec_lo, exec_lo, s1
	v_dual_mov_b32 v8, 0 :: v_dual_bitop2_b32 v9, s13, v1 bitop3:0x54
                                        ; implicit-def: $vgpr10_vgpr11
	s_mov_b32 s0, exec_lo
	v_cmpx_ne_u64_e32 0, v[8:9]
	s_xor_b32 s1, exec_lo, s0
	s_cbranch_execz .LBB10_94
; %bb.93:
	s_ashr_i32 s8, s13, 31
	s_mov_b32 s27, 0
	s_mov_b32 s9, s8
	v_dual_mov_b32 v15, v8 :: v_dual_ashrrev_i32 v10, 31, v1
	s_add_nc_u64 s[14:15], s[12:13], s[8:9]
	v_dual_mov_b32 v23, v8 :: v_dual_mov_b32 v9, v8
	s_xor_b64 s[14:15], s[14:15], s[8:9]
	s_delay_alu instid0(VALU_DEP_2) | instskip(SKIP_3) | instid1(VALU_DEP_1)
	v_mov_b32_e32 v11, v10
	s_cvt_f32_u32 s0, s14
	s_cvt_f32_u32 s9, s15
	s_sub_nc_u64 s[22:23], 0, s[14:15]
	v_add_nc_u64_e32 v[12:13], v[0:1], v[10:11]
	s_delay_alu instid0(SALU_CYCLE_1) | instskip(SKIP_1) | instid1(SALU_CYCLE_2)
	s_fmamk_f32 s0, s9, 0x4f800000, s0
	v_mov_b32_e32 v17, v8
	v_s_rcp_f32 s0, s0
	s_delay_alu instid0(VALU_DEP_2) | instskip(NEXT) | instid1(VALU_DEP_3)
	v_xor_b32_e32 v14, v12, v10
	v_xor_b32_e32 v16, v13, v10
	;; [unrolled: 1-line block ×3, first 2 shown]
	s_delay_alu instid0(TRANS32_DEP_1) | instskip(NEXT) | instid1(SALU_CYCLE_3)
	s_mul_f32 s0, s0, 0x5f7ffffc
	s_mul_f32 s9, s0, 0x2f800000
	s_delay_alu instid0(SALU_CYCLE_3) | instskip(NEXT) | instid1(SALU_CYCLE_3)
	s_trunc_f32 s9, s9
	s_fmamk_f32 s0, s9, 0xcf800000, s0
	s_cvt_u32_f32 s21, s9
	s_delay_alu instid0(SALU_CYCLE_2) | instskip(NEXT) | instid1(SALU_CYCLE_3)
	s_cvt_u32_f32 s20, s0
	s_mul_u64 s[24:25], s[22:23], s[20:21]
	s_delay_alu instid0(SALU_CYCLE_1)
	s_mul_hi_u32 s29, s20, s25
	s_mul_i32 s28, s20, s25
	s_mul_hi_u32 s26, s20, s24
	s_mul_i32 s9, s21, s24
	s_add_nc_u64 s[28:29], s[26:27], s[28:29]
	s_mul_hi_u32 s0, s21, s24
	s_mul_hi_u32 s30, s21, s25
	s_add_co_u32 s9, s28, s9
	s_add_co_ci_u32 s26, s29, s0
	s_mul_i32 s24, s21, s25
	s_add_co_ci_u32 s25, s30, 0
	s_delay_alu instid0(SALU_CYCLE_1) | instskip(NEXT) | instid1(SALU_CYCLE_1)
	s_add_nc_u64 s[24:25], s[26:27], s[24:25]
	s_add_co_u32 s20, s20, s24
	s_cselect_b32 s0, -1, 0
	s_delay_alu instid0(SALU_CYCLE_1) | instskip(SKIP_1) | instid1(SALU_CYCLE_1)
	s_cmp_lg_u32 s0, 0
	s_add_co_ci_u32 s21, s21, s25
	s_mul_u64 s[22:23], s[22:23], s[20:21]
	s_delay_alu instid0(SALU_CYCLE_1)
	s_mul_hi_u32 s25, s20, s23
	s_mul_i32 s24, s20, s23
	s_mul_hi_u32 s26, s20, s22
	s_mul_i32 s9, s21, s22
	s_add_nc_u64 s[24:25], s[26:27], s[24:25]
	s_mul_hi_u32 s0, s21, s22
	s_mul_hi_u32 s28, s21, s23
	s_add_co_u32 s9, s24, s9
	s_add_co_ci_u32 s26, s25, s0
	s_mul_i32 s22, s21, s23
	s_add_co_ci_u32 s23, s28, 0
	s_delay_alu instid0(SALU_CYCLE_1) | instskip(NEXT) | instid1(SALU_CYCLE_1)
	s_add_nc_u64 s[22:23], s[26:27], s[22:23]
	s_add_co_u32 s0, s20, s22
	s_cselect_b32 s9, -1, 0
	v_mul_hi_u32 v22, v14, s0
	s_cmp_lg_u32 s9, 0
	s_add_co_ci_u32 s26, s21, s23
	s_mov_b64 s[20:21], 0xffffffff
	v_mul_u64_e32 v[18:19], s[26:27], v[14:15]
	s_and_b64 s[20:21], s[0:1], s[20:21]
	v_mul_u64_e32 v[20:21], s[26:27], v[16:17]
	v_mul_u64_e32 v[12:13], s[20:21], v[16:17]
	s_delay_alu instid0(VALU_DEP_3) | instskip(NEXT) | instid1(VALU_DEP_1)
	v_add_nc_u64_e32 v[18:19], v[22:23], v[18:19]
	v_add_co_u32 v3, vcc_lo, v18, v12
	s_delay_alu instid0(VALU_DEP_2) | instskip(SKIP_1) | instid1(VALU_DEP_1)
	v_add_co_ci_u32_e32 v8, vcc_lo, v19, v13, vcc_lo
	v_add_co_ci_u32_e32 v21, vcc_lo, 0, v21, vcc_lo
	v_add_nc_u64_e32 v[8:9], v[8:9], v[20:21]
	s_delay_alu instid0(VALU_DEP_1) | instskip(NEXT) | instid1(VALU_DEP_1)
	v_mul_u64_e32 v[12:13], s[14:15], v[8:9]
	v_sub_co_u32 v5, vcc_lo, v14, v12
	v_add_nc_u64_e32 v[14:15], 1, v[8:9]
	s_delay_alu instid0(VALU_DEP_3) | instskip(SKIP_1) | instid1(VALU_DEP_4)
	v_sub_nc_u32_e32 v3, v16, v13
	v_sub_co_ci_u32_e64 v16, null, v16, v13, vcc_lo
	v_sub_co_u32 v11, s0, v5, s14
	s_delay_alu instid0(VALU_DEP_3) | instskip(NEXT) | instid1(VALU_DEP_2)
	v_subrev_co_ci_u32_e64 v3, null, s15, v3, vcc_lo
	v_cmp_le_u32_e32 vcc_lo, s14, v11
	s_delay_alu instid0(VALU_DEP_2) | instskip(SKIP_1) | instid1(VALU_DEP_2)
	v_subrev_co_ci_u32_e64 v3, null, 0, v3, s0
	v_cndmask_b32_e64 v11, 0, -1, vcc_lo
	v_cmp_le_u32_e32 vcc_lo, s15, v3
	v_cndmask_b32_e64 v12, 0, -1, vcc_lo
	v_cmp_le_u32_e32 vcc_lo, s14, v5
	;; [unrolled: 2-line block ×3, first 2 shown]
	v_cndmask_b32_e64 v17, 0, -1, vcc_lo
	v_cmp_eq_u32_e32 vcc_lo, s15, v3
	v_cndmask_b32_e32 v3, v12, v11, vcc_lo
	v_cmp_eq_u32_e32 vcc_lo, s15, v16
	v_add_nc_u64_e32 v[12:13], 2, v[8:9]
	v_cndmask_b32_e32 v5, v17, v5, vcc_lo
	s_delay_alu instid0(VALU_DEP_4) | instskip(NEXT) | instid1(VALU_DEP_2)
	v_cmp_ne_u32_e32 vcc_lo, 0, v3
	v_cmp_ne_u32_e64 s0, 0, v5
	s_delay_alu instid0(VALU_DEP_4) | instskip(NEXT) | instid1(VALU_DEP_1)
	v_dual_cndmask_b32 v3, v15, v13, vcc_lo :: v_dual_cndmask_b32 v5, v14, v12, vcc_lo
	v_dual_cndmask_b32 v3, v9, v3, s0 :: v_dual_cndmask_b32 v5, v8, v5, s0
	s_delay_alu instid0(VALU_DEP_1) | instskip(NEXT) | instid1(VALU_DEP_2)
	v_dual_mov_b32 v11, v10 :: v_dual_bitop2_b32 v9, v3, v10 bitop3:0x14
	v_xor_b32_e32 v8, v5, v10
	s_delay_alu instid0(VALU_DEP_1)
	v_sub_nc_u64_e32 v[10:11], v[8:9], v[10:11]
.LBB10_94:
	s_and_not1_saveexec_b32 s0, s1
	s_cbranch_execz .LBB10_96
; %bb.95:
	v_cvt_f32_u32_e32 v3, s12
	s_sub_co_i32 s1, 0, s12
	v_mov_b32_e32 v11, 0
	s_delay_alu instid0(VALU_DEP_2) | instskip(SKIP_1) | instid1(TRANS32_DEP_1)
	v_rcp_iflag_f32_e32 v3, v3
	v_nop
	v_mul_f32_e32 v3, 0x4f7ffffe, v3
	s_delay_alu instid0(VALU_DEP_1) | instskip(NEXT) | instid1(VALU_DEP_1)
	v_cvt_u32_f32_e32 v3, v3
	v_mul_lo_u32 v5, s1, v3
	s_delay_alu instid0(VALU_DEP_1) | instskip(NEXT) | instid1(VALU_DEP_1)
	v_mul_hi_u32 v5, v3, v5
	v_add_nc_u32_e32 v3, v3, v5
	s_delay_alu instid0(VALU_DEP_1) | instskip(NEXT) | instid1(VALU_DEP_1)
	v_mul_hi_u32 v3, v0, v3
	v_mul_lo_u32 v5, v3, s12
	s_delay_alu instid0(VALU_DEP_1) | instskip(NEXT) | instid1(VALU_DEP_1)
	v_sub_nc_u32_e32 v5, v0, v5
	v_subrev_nc_u32_e32 v9, s12, v5
	v_cmp_le_u32_e32 vcc_lo, s12, v5
	s_delay_alu instid0(VALU_DEP_2) | instskip(NEXT) | instid1(VALU_DEP_1)
	v_dual_cndmask_b32 v5, v5, v9 :: v_dual_add_nc_u32 v8, 1, v3
	v_cndmask_b32_e32 v3, v3, v8, vcc_lo
	s_delay_alu instid0(VALU_DEP_2) | instskip(NEXT) | instid1(VALU_DEP_2)
	v_cmp_le_u32_e32 vcc_lo, s12, v5
	v_add_nc_u32_e32 v8, 1, v3
	s_delay_alu instid0(VALU_DEP_1)
	v_cndmask_b32_e32 v10, v3, v8, vcc_lo
.LBB10_96:
	s_or_b32 exec_lo, exec_lo, s0
	v_mul_u64_e32 v[12:13], s[12:13], v[6:7]
	s_delay_alu instid0(VALU_DEP_2) | instskip(SKIP_1) | instid1(VALU_DEP_2)
	v_min_i64 v[8:9], v[10:11], s[2:3]
	s_mov_b32 s2, 0
	v_add_nc_u64_e32 v[10:11], s[10:11], v[12:13]
	v_cmp_gt_i64_e32 vcc_lo, v[12:13], v[0:1]
	s_delay_alu instid0(VALU_DEP_2) | instskip(SKIP_2) | instid1(SALU_CYCLE_1)
	v_cmp_ge_i64_e64 s0, v[0:1], v[10:11]
	v_mov_b32_e32 v11, s2
	s_or_b32 s0, vcc_lo, s0
	v_cndmask_b32_e64 v10, 0, 1, s0
	s_delay_alu instid0(VALU_DEP_1) | instskip(NEXT) | instid1(VALU_DEP_1)
	v_add_nc_u64_e32 v[6:7], v[6:7], v[10:11]
	v_cmp_le_i64_e32 vcc_lo, v[6:7], v[8:9]
	s_and_b32 exec_lo, exec_lo, vcc_lo
	s_cbranch_execz .LBB10_99
; %bb.97:
	global_load_u8 v10, v2, s[4:5]
	v_mul_u64_e32 v[12:13], s[12:13], v[6:7]
	v_mul_u64_e32 v[14:15], s[16:17], v[6:7]
	v_mov_b32_e32 v3, 0
	s_mul_u64 s[0:1], s[12:13], s[18:19]
	s_delay_alu instid0(SALU_CYCLE_1) | instskip(NEXT) | instid1(VALU_DEP_1)
	s_sub_nc_u64 s[0:1], s[16:17], s[0:1]
	v_mov_b32_e32 v5, v3
	s_delay_alu instid0(VALU_DEP_4) | instskip(NEXT) | instid1(VALU_DEP_1)
	v_sub_nc_u64_e32 v[0:1], v[0:1], v[12:13]
	v_mad_nc_u64_u32 v[12:13], s18, v0, v[14:15]
	s_delay_alu instid0(VALU_DEP_1) | instskip(NEXT) | instid1(VALU_DEP_1)
	v_mad_u32 v0, s19, v0, v13
	v_mad_u32 v13, s18, v1, v0
	v_add_nc_u64_e32 v[0:1], s[4:5], v[2:3]
	s_wait_xcnt 0x0
	v_add_nc_u64_e32 v[2:3], -1, v[6:7]
	s_delay_alu instid0(VALU_DEP_3) | instskip(NEXT) | instid1(VALU_DEP_1)
	v_add_nc_u64_e32 v[4:5], v[12:13], v[4:5]
	v_add_nc_u64_e32 v[4:5], s[6:7], v[4:5]
.LBB10_98:                              ; =>This Inner Loop Header: Depth=1
	global_load_u8 v6, v[4:5], off
	v_add_nc_u64_e32 v[2:3], 1, v[2:3]
	s_wait_xcnt 0x0
	v_add_nc_u64_e32 v[4:5], s[0:1], v[4:5]
	s_delay_alu instid0(VALU_DEP_2)
	v_cmp_ge_i64_e32 vcc_lo, v[2:3], v[8:9]
	s_or_b32 s2, vcc_lo, s2
	s_wait_loadcnt 0x0
	v_or_b32_e32 v10, v6, v10
	global_store_b8 v[0:1], v10, off
	s_wait_xcnt 0x0
	s_and_not1_b32 exec_lo, exec_lo, s2
	s_cbranch_execnz .LBB10_98
.LBB10_99:
	s_endpgm
	.section	.rodata,"a",@progbits
	.p2align	6, 0x0
	.amdhsa_kernel _ZN2at6native12_GLOBAL__N_135_unfold_backward_elementwise_kernelILi256ELi4EZNS1_32_unfold_backward_internal_kernelIbEEvRNS_14TensorIteratorEllllllEUliE_EEviT1_
		.amdhsa_group_segment_fixed_size 0
		.amdhsa_private_segment_fixed_size 0
		.amdhsa_kernarg_size 464
		.amdhsa_user_sgpr_count 2
		.amdhsa_user_sgpr_dispatch_ptr 0
		.amdhsa_user_sgpr_queue_ptr 0
		.amdhsa_user_sgpr_kernarg_segment_ptr 1
		.amdhsa_user_sgpr_dispatch_id 0
		.amdhsa_user_sgpr_kernarg_preload_length 0
		.amdhsa_user_sgpr_kernarg_preload_offset 0
		.amdhsa_user_sgpr_private_segment_size 0
		.amdhsa_wavefront_size32 1
		.amdhsa_uses_dynamic_stack 0
		.amdhsa_enable_private_segment 0
		.amdhsa_system_sgpr_workgroup_id_x 1
		.amdhsa_system_sgpr_workgroup_id_y 0
		.amdhsa_system_sgpr_workgroup_id_z 0
		.amdhsa_system_sgpr_workgroup_info 0
		.amdhsa_system_vgpr_workitem_id 0
		.amdhsa_next_free_vgpr 28
		.amdhsa_next_free_sgpr 56
		.amdhsa_named_barrier_count 0
		.amdhsa_reserve_vcc 1
		.amdhsa_float_round_mode_32 0
		.amdhsa_float_round_mode_16_64 0
		.amdhsa_float_denorm_mode_32 3
		.amdhsa_float_denorm_mode_16_64 3
		.amdhsa_fp16_overflow 0
		.amdhsa_memory_ordered 1
		.amdhsa_forward_progress 1
		.amdhsa_inst_pref_size 76
		.amdhsa_round_robin_scheduling 0
		.amdhsa_exception_fp_ieee_invalid_op 0
		.amdhsa_exception_fp_denorm_src 0
		.amdhsa_exception_fp_ieee_div_zero 0
		.amdhsa_exception_fp_ieee_overflow 0
		.amdhsa_exception_fp_ieee_underflow 0
		.amdhsa_exception_fp_ieee_inexact 0
		.amdhsa_exception_int_div_zero 0
	.end_amdhsa_kernel
	.section	.text._ZN2at6native12_GLOBAL__N_135_unfold_backward_elementwise_kernelILi256ELi4EZNS1_32_unfold_backward_internal_kernelIbEEvRNS_14TensorIteratorEllllllEUliE_EEviT1_,"axG",@progbits,_ZN2at6native12_GLOBAL__N_135_unfold_backward_elementwise_kernelILi256ELi4EZNS1_32_unfold_backward_internal_kernelIbEEvRNS_14TensorIteratorEllllllEUliE_EEviT1_,comdat
.Lfunc_end10:
	.size	_ZN2at6native12_GLOBAL__N_135_unfold_backward_elementwise_kernelILi256ELi4EZNS1_32_unfold_backward_internal_kernelIbEEvRNS_14TensorIteratorEllllllEUliE_EEviT1_, .Lfunc_end10-_ZN2at6native12_GLOBAL__N_135_unfold_backward_elementwise_kernelILi256ELi4EZNS1_32_unfold_backward_internal_kernelIbEEvRNS_14TensorIteratorEllllllEUliE_EEviT1_
                                        ; -- End function
	.set _ZN2at6native12_GLOBAL__N_135_unfold_backward_elementwise_kernelILi256ELi4EZNS1_32_unfold_backward_internal_kernelIbEEvRNS_14TensorIteratorEllllllEUliE_EEviT1_.num_vgpr, 28
	.set _ZN2at6native12_GLOBAL__N_135_unfold_backward_elementwise_kernelILi256ELi4EZNS1_32_unfold_backward_internal_kernelIbEEvRNS_14TensorIteratorEllllllEUliE_EEviT1_.num_agpr, 0
	.set _ZN2at6native12_GLOBAL__N_135_unfold_backward_elementwise_kernelILi256ELi4EZNS1_32_unfold_backward_internal_kernelIbEEvRNS_14TensorIteratorEllllllEUliE_EEviT1_.numbered_sgpr, 56
	.set _ZN2at6native12_GLOBAL__N_135_unfold_backward_elementwise_kernelILi256ELi4EZNS1_32_unfold_backward_internal_kernelIbEEvRNS_14TensorIteratorEllllllEUliE_EEviT1_.num_named_barrier, 0
	.set _ZN2at6native12_GLOBAL__N_135_unfold_backward_elementwise_kernelILi256ELi4EZNS1_32_unfold_backward_internal_kernelIbEEvRNS_14TensorIteratorEllllllEUliE_EEviT1_.private_seg_size, 0
	.set _ZN2at6native12_GLOBAL__N_135_unfold_backward_elementwise_kernelILi256ELi4EZNS1_32_unfold_backward_internal_kernelIbEEvRNS_14TensorIteratorEllllllEUliE_EEviT1_.uses_vcc, 1
	.set _ZN2at6native12_GLOBAL__N_135_unfold_backward_elementwise_kernelILi256ELi4EZNS1_32_unfold_backward_internal_kernelIbEEvRNS_14TensorIteratorEllllllEUliE_EEviT1_.uses_flat_scratch, 0
	.set _ZN2at6native12_GLOBAL__N_135_unfold_backward_elementwise_kernelILi256ELi4EZNS1_32_unfold_backward_internal_kernelIbEEvRNS_14TensorIteratorEllllllEUliE_EEviT1_.has_dyn_sized_stack, 0
	.set _ZN2at6native12_GLOBAL__N_135_unfold_backward_elementwise_kernelILi256ELi4EZNS1_32_unfold_backward_internal_kernelIbEEvRNS_14TensorIteratorEllllllEUliE_EEviT1_.has_recursion, 0
	.set _ZN2at6native12_GLOBAL__N_135_unfold_backward_elementwise_kernelILi256ELi4EZNS1_32_unfold_backward_internal_kernelIbEEvRNS_14TensorIteratorEllllllEUliE_EEviT1_.has_indirect_call, 0
	.section	.AMDGPU.csdata,"",@progbits
; Kernel info:
; codeLenInByte = 9712
; TotalNumSgprs: 58
; NumVgprs: 28
; ScratchSize: 0
; MemoryBound: 0
; FloatMode: 240
; IeeeMode: 1
; LDSByteSize: 0 bytes/workgroup (compile time only)
; SGPRBlocks: 0
; VGPRBlocks: 1
; NumSGPRsForWavesPerEU: 58
; NumVGPRsForWavesPerEU: 28
; NamedBarCnt: 0
; Occupancy: 16
; WaveLimiterHint : 1
; COMPUTE_PGM_RSRC2:SCRATCH_EN: 0
; COMPUTE_PGM_RSRC2:USER_SGPR: 2
; COMPUTE_PGM_RSRC2:TRAP_HANDLER: 0
; COMPUTE_PGM_RSRC2:TGID_X_EN: 1
; COMPUTE_PGM_RSRC2:TGID_Y_EN: 0
; COMPUTE_PGM_RSRC2:TGID_Z_EN: 0
; COMPUTE_PGM_RSRC2:TIDIG_COMP_CNT: 0
	.section	.text._ZN2at6native12_GLOBAL__N_135_unfold_backward_elementwise_kernelILi256ELi4EZNS1_32_unfold_backward_internal_kernelIN3c108BFloat16EEEvRNS_14TensorIteratorEllllllEUliE_EEviT1_,"axG",@progbits,_ZN2at6native12_GLOBAL__N_135_unfold_backward_elementwise_kernelILi256ELi4EZNS1_32_unfold_backward_internal_kernelIN3c108BFloat16EEEvRNS_14TensorIteratorEllllllEUliE_EEviT1_,comdat
	.globl	_ZN2at6native12_GLOBAL__N_135_unfold_backward_elementwise_kernelILi256ELi4EZNS1_32_unfold_backward_internal_kernelIN3c108BFloat16EEEvRNS_14TensorIteratorEllllllEUliE_EEviT1_ ; -- Begin function _ZN2at6native12_GLOBAL__N_135_unfold_backward_elementwise_kernelILi256ELi4EZNS1_32_unfold_backward_internal_kernelIN3c108BFloat16EEEvRNS_14TensorIteratorEllllllEUliE_EEviT1_
	.p2align	8
	.type	_ZN2at6native12_GLOBAL__N_135_unfold_backward_elementwise_kernelILi256ELi4EZNS1_32_unfold_backward_internal_kernelIN3c108BFloat16EEEvRNS_14TensorIteratorEllllllEUliE_EEviT1_,@function
_ZN2at6native12_GLOBAL__N_135_unfold_backward_elementwise_kernelILi256ELi4EZNS1_32_unfold_backward_internal_kernelIN3c108BFloat16EEEvRNS_14TensorIteratorEllllllEUliE_EEviT1_: ; @_ZN2at6native12_GLOBAL__N_135_unfold_backward_elementwise_kernelILi256ELi4EZNS1_32_unfold_backward_internal_kernelIN3c108BFloat16EEEvRNS_14TensorIteratorEllllllEUliE_EEviT1_
; %bb.0:
	s_clause 0x2
	s_load_b128 s[20:23], s[0:1], 0x8
	s_load_b32 s31, s[0:1], 0x0
	s_load_b512 s[4:19], s[0:1], 0x190
	s_bfe_u32 s3, ttmp6, 0x4000c
	s_clause 0x2
	s_load_b96 s[28:30], s[0:1], 0x18
	s_load_b128 s[24:27], s[0:1], 0xcc
	s_load_b64 s[34:35], s[0:1], 0xdc
	s_add_co_i32 s3, s3, 1
	s_and_b32 s2, ttmp6, 15
	s_mul_i32 s3, ttmp9, s3
	s_getreg_b32 s33, hwreg(HW_REG_IB_STS2, 6, 4)
	s_add_co_i32 s2, s2, s3
	s_add_nc_u64 s[40:41], s[0:1], 8
	s_cmp_eq_u32 s33, 0
	s_mov_b32 s37, 0
	s_cselect_b32 s2, ttmp9, s2
	s_mov_b32 s42, -1
	v_lshl_or_b32 v0, s2, 10, v0
	s_mov_b32 s39, s37
	s_wait_kmcnt 0x0
	v_sub_co_u32 v1, s3, s20, 1
	s_mov_b32 s36, s22
	s_xor_b32 s33, s3, -1
	s_mov_b32 s38, s29
	v_readfirstlane_b32 s1, v1
	v_cmp_lt_u32_e32 vcc_lo, 1, v1
	s_add_nc_u64 s[2:3], s[14:15], -1
	s_mov_b32 s29, exec_lo
	s_min_u32 s22, s1, 15
	v_cndmask_b32_e64 v14, 0, 1, vcc_lo
	s_cmp_gt_u32 s20, 1
	s_cselect_b32 s20, -1, 0
	v_cmpx_gt_i32_e64 s31, v0
	s_cbranch_execnz .LBB11_4
; %bb.1:
	s_or_b32 exec_lo, exec_lo, s29
	s_delay_alu instid0(SALU_CYCLE_1)
	s_mov_b32 s29, exec_lo
	v_cmpx_gt_i32_e64 s31, v0
	s_cbranch_execnz .LBB11_28
.LBB11_2:
	s_or_b32 exec_lo, exec_lo, s29
	s_delay_alu instid0(SALU_CYCLE_1)
	s_mov_b32 s29, exec_lo
	v_cmpx_gt_i32_e64 s31, v0
	s_cbranch_execnz .LBB11_52
.LBB11_3:
	s_or_b32 exec_lo, exec_lo, s29
	s_delay_alu instid0(SALU_CYCLE_1)
	s_mov_b32 s0, exec_lo
	v_cmpx_gt_i32_e64 s31, v0
	s_cbranch_execnz .LBB11_76
	s_branch .LBB11_99
.LBB11_4:
	s_and_not1_b32 vcc_lo, exec_lo, vcc_lo
                                        ; implicit-def: $vgpr3
                                        ; implicit-def: $vgpr4
                                        ; implicit-def: $vgpr2
	s_cbranch_vccnz .LBB11_11
; %bb.5:
	v_dual_mov_b32 v3, 0 :: v_dual_mov_b32 v4, 0
	v_mov_b32_e32 v2, 0
	s_and_not1_b32 vcc_lo, exec_lo, s33
	s_cbranch_vccnz .LBB11_10
; %bb.6:
	v_dual_mov_b32 v2, 0 :: v_dual_mov_b32 v1, v0
	v_dual_mov_b32 v4, 0 :: v_dual_mov_b32 v3, 0
	s_add_co_i32 s14, s22, 1
	s_mov_b64 s[0:1], 0xffffffffffffffe8
	s_and_b32 s14, s14, 30
	s_add_nc_u64 s[0:1], s[40:41], s[0:1]
.LBB11_7:                               ; =>This Inner Loop Header: Depth=1
	s_clause 0x1
	s_load_b128 s[44:47], s[0:1], 0x1c
	s_load_b64 s[42:43], s[0:1], 0x2c
	s_add_co_i32 s14, s14, -2
	s_delay_alu instid0(SALU_CYCLE_1) | instskip(SKIP_2) | instid1(VALU_DEP_1)
	s_cmp_lg_u32 s14, 0
	s_wait_kmcnt 0x0
	v_mul_hi_u32 v5, s45, v1
	v_add_nc_u32_e32 v5, v1, v5
	s_delay_alu instid0(VALU_DEP_1) | instskip(NEXT) | instid1(VALU_DEP_1)
	v_lshrrev_b32_e32 v5, s46, v5
	v_mul_hi_u32 v6, s42, v5
	v_mul_lo_u32 v7, v5, s44
	s_clause 0x1
	s_load_b128 s[48:51], s[0:1], 0xdc
	s_load_b64 s[44:45], s[0:1], 0xec
	s_wait_xcnt 0x0
	s_add_nc_u64 s[0:1], s[0:1], 24
	s_delay_alu instid0(VALU_DEP_2) | instskip(NEXT) | instid1(VALU_DEP_1)
	v_add_nc_u32_e32 v6, v5, v6
	v_dual_sub_nc_u32 v7, v1, v7 :: v_dual_lshrrev_b32 v1, s43, v6
	s_wait_kmcnt 0x0
	s_delay_alu instid0(VALU_DEP_1) | instskip(NEXT) | instid1(VALU_DEP_2)
	v_mad_u32 v2, v7, s48, v2
	v_mul_lo_u32 v6, v1, s47
	v_mad_u32 v3, v7, s50, v3
	v_mad_u32 v4, v7, s49, v4
	s_delay_alu instid0(VALU_DEP_3) | instskip(NEXT) | instid1(VALU_DEP_1)
	v_sub_nc_u32_e32 v5, v5, v6
	v_mad_u32 v2, v5, s51, v2
	s_delay_alu instid0(VALU_DEP_4) | instskip(NEXT) | instid1(VALU_DEP_4)
	v_mad_u32 v3, v5, s45, v3
	v_mad_u32 v4, v5, s44, v4
	s_cbranch_scc1 .LBB11_7
; %bb.8:
	s_bitcmp1_b32 s22, 0
	s_cselect_b32 s14, -1, 0
	s_delay_alu instid0(SALU_CYCLE_1)
	s_and_b32 vcc_lo, exec_lo, s14
	s_cbranch_vccnz .LBB11_10
; %bb.9:
	s_clause 0x1
	s_load_b96 s[44:46], s[0:1], 0x1c
	s_load_b96 s[48:50], s[0:1], 0xdc
	s_wait_kmcnt 0x0
	v_mul_hi_u32 v5, s45, v1
	s_delay_alu instid0(VALU_DEP_1) | instskip(NEXT) | instid1(VALU_DEP_1)
	v_add_nc_u32_e32 v5, v1, v5
	v_lshrrev_b32_e32 v5, s46, v5
	s_delay_alu instid0(VALU_DEP_1) | instskip(NEXT) | instid1(VALU_DEP_1)
	v_mul_lo_u32 v5, v5, s44
	v_sub_nc_u32_e32 v1, v1, v5
	s_delay_alu instid0(VALU_DEP_1)
	v_mad_u32 v2, v1, s48, v2
	v_mad_u32 v4, v1, s49, v4
	;; [unrolled: 1-line block ×3, first 2 shown]
.LBB11_10:
	s_mov_b32 s42, 0
.LBB11_11:
	s_delay_alu instid0(SALU_CYCLE_1)
	s_and_not1_b32 vcc_lo, exec_lo, s42
	s_cbranch_vccnz .LBB11_14
; %bb.12:
	v_mov_b32_e32 v1, 0
	s_and_not1_b32 vcc_lo, exec_lo, s20
	s_delay_alu instid0(VALU_DEP_1) | instskip(NEXT) | instid1(VALU_DEP_1)
	v_mul_u64_e32 v[2:3], s[36:37], v[0:1]
	v_add_nc_u32_e32 v2, v0, v3
	s_delay_alu instid0(VALU_DEP_1) | instskip(NEXT) | instid1(VALU_DEP_1)
	v_lshrrev_b32_e32 v6, s23, v2
	v_mul_lo_u32 v2, v6, s21
	s_delay_alu instid0(VALU_DEP_1) | instskip(NEXT) | instid1(VALU_DEP_1)
	v_sub_nc_u32_e32 v4, v0, v2
	v_mul_lo_u32 v2, v4, s24
	v_mul_lo_u32 v3, v4, s26
	;; [unrolled: 1-line block ×3, first 2 shown]
	s_cbranch_vccnz .LBB11_14
; %bb.13:
	v_mov_b32_e32 v7, v1
	s_delay_alu instid0(VALU_DEP_1) | instskip(NEXT) | instid1(VALU_DEP_1)
	v_mul_u64_e32 v[8:9], s[38:39], v[6:7]
	v_add_nc_u32_e32 v1, v6, v9
	s_delay_alu instid0(VALU_DEP_1) | instskip(NEXT) | instid1(VALU_DEP_1)
	v_lshrrev_b32_e32 v1, s30, v1
	v_mul_lo_u32 v1, v1, s28
	s_delay_alu instid0(VALU_DEP_1) | instskip(NEXT) | instid1(VALU_DEP_1)
	v_sub_nc_u32_e32 v1, v6, v1
	v_mad_u32 v2, v1, s27, v2
	v_mad_u32 v4, v1, s34, v4
	v_mad_u32 v3, v1, s35, v3
.LBB11_14:
	global_load_b64 v[6:7], v3, s[8:9]
	v_mov_b64_e32 v[8:9], 0
	s_mov_b32 s1, exec_lo
	s_wait_loadcnt 0x0
	v_cmpx_lt_i64_e64 s[10:11], v[6:7]
	s_cbranch_execz .LBB11_20
; %bb.15:
	v_sub_nc_u64_e64 v[12:13], v[6:7], s[10:11]
                                        ; implicit-def: $vgpr8_vgpr9
	s_mov_b32 s0, exec_lo
	s_delay_alu instid0(VALU_DEP_1) | instskip(NEXT) | instid1(VALU_DEP_1)
	v_dual_mov_b32 v10, 0 :: v_dual_bitop2_b32 v11, s13, v13 bitop3:0x54
	v_cmpx_ne_u64_e32 0, v[10:11]
	s_xor_b32 s44, exec_lo, s0
	s_cbranch_execz .LBB11_17
; %bb.16:
	s_ashr_i32 s14, s13, 31
	s_mov_b32 s53, 0
	s_mov_b32 s15, s14
	v_dual_mov_b32 v17, v10 :: v_dual_ashrrev_i32 v8, 31, v13
	s_add_nc_u64 s[42:43], s[12:13], s[14:15]
	v_mov_b32_e32 v19, v10
	s_xor_b64 s[42:43], s[42:43], s[14:15]
	s_delay_alu instid0(VALU_DEP_2)
	v_mov_b32_e32 v9, v8
	s_cvt_f32_u32 s0, s42
	s_cvt_f32_u32 s15, s43
	s_sub_nc_u64 s[48:49], 0, s[42:43]
	v_mov_b32_e32 v25, v10
	v_add_nc_u64_e32 v[12:13], v[12:13], v[8:9]
	s_fmamk_f32 s0, s15, 0x4f800000, s0
	v_mov_b32_e32 v11, v10
	s_delay_alu instid0(SALU_CYCLE_2) | instskip(NEXT) | instid1(VALU_DEP_2)
	v_s_rcp_f32 s0, s0
	v_xor_b32_e32 v16, v12, v8
	s_delay_alu instid0(VALU_DEP_3) | instskip(SKIP_1) | instid1(TRANS32_DEP_1)
	v_xor_b32_e32 v18, v13, v8
	v_xor_b32_e32 v8, s14, v8
	s_mul_f32 s0, s0, 0x5f7ffffc
	s_delay_alu instid0(SALU_CYCLE_3) | instskip(NEXT) | instid1(SALU_CYCLE_3)
	s_mul_f32 s15, s0, 0x2f800000
	s_trunc_f32 s15, s15
	s_delay_alu instid0(SALU_CYCLE_3) | instskip(SKIP_1) | instid1(SALU_CYCLE_2)
	s_fmamk_f32 s0, s15, 0xcf800000, s0
	s_cvt_u32_f32 s47, s15
	s_cvt_u32_f32 s46, s0
	s_delay_alu instid0(SALU_CYCLE_3) | instskip(NEXT) | instid1(SALU_CYCLE_1)
	s_mul_u64 s[50:51], s[48:49], s[46:47]
	s_mul_hi_u32 s55, s46, s51
	s_mul_i32 s54, s46, s51
	s_mul_hi_u32 s52, s46, s50
	s_mul_i32 s15, s47, s50
	s_add_nc_u64 s[54:55], s[52:53], s[54:55]
	s_mul_hi_u32 s0, s47, s50
	s_mul_hi_u32 s45, s47, s51
	s_add_co_u32 s15, s54, s15
	s_add_co_ci_u32 s52, s55, s0
	s_mul_i32 s50, s47, s51
	s_add_co_ci_u32 s51, s45, 0
	s_delay_alu instid0(SALU_CYCLE_1) | instskip(NEXT) | instid1(SALU_CYCLE_1)
	s_add_nc_u64 s[50:51], s[52:53], s[50:51]
	s_add_co_u32 s46, s46, s50
	s_cselect_b32 s0, -1, 0
	s_delay_alu instid0(SALU_CYCLE_1) | instskip(SKIP_1) | instid1(SALU_CYCLE_1)
	s_cmp_lg_u32 s0, 0
	s_add_co_ci_u32 s47, s47, s51
	s_mul_u64 s[48:49], s[48:49], s[46:47]
	s_delay_alu instid0(SALU_CYCLE_1)
	s_mul_hi_u32 s51, s46, s49
	s_mul_i32 s50, s46, s49
	s_mul_hi_u32 s52, s46, s48
	s_mul_i32 s15, s47, s48
	s_add_nc_u64 s[50:51], s[52:53], s[50:51]
	s_mul_hi_u32 s0, s47, s48
	s_mul_hi_u32 s45, s47, s49
	s_add_co_u32 s15, s50, s15
	s_add_co_ci_u32 s52, s51, s0
	s_mul_i32 s48, s47, s49
	s_add_co_ci_u32 s49, s45, 0
	s_delay_alu instid0(SALU_CYCLE_1) | instskip(NEXT) | instid1(SALU_CYCLE_1)
	s_add_nc_u64 s[48:49], s[52:53], s[48:49]
	s_add_co_u32 s0, s46, s48
	s_cselect_b32 s15, -1, 0
	v_mul_hi_u32 v24, v16, s0
	s_cmp_lg_u32 s15, 0
	s_add_co_ci_u32 s52, s47, s49
	s_mov_b64 s[46:47], 0xffffffff
	v_mul_u64_e32 v[20:21], s[52:53], v[16:17]
	s_and_b64 s[46:47], s[0:1], s[46:47]
	v_mul_u64_e32 v[22:23], s[52:53], v[18:19]
	v_mul_u64_e32 v[12:13], s[46:47], v[18:19]
	s_delay_alu instid0(VALU_DEP_3) | instskip(NEXT) | instid1(VALU_DEP_1)
	v_add_nc_u64_e32 v[20:21], v[24:25], v[20:21]
	v_add_co_u32 v1, vcc_lo, v20, v12
	s_delay_alu instid0(VALU_DEP_2) | instskip(SKIP_1) | instid1(VALU_DEP_1)
	v_add_co_ci_u32_e32 v10, vcc_lo, v21, v13, vcc_lo
	v_add_co_ci_u32_e32 v23, vcc_lo, 0, v23, vcc_lo
	v_add_nc_u64_e32 v[10:11], v[10:11], v[22:23]
	s_delay_alu instid0(VALU_DEP_1) | instskip(NEXT) | instid1(VALU_DEP_1)
	v_mul_u64_e32 v[12:13], s[42:43], v[10:11]
	v_sub_nc_u32_e32 v1, v18, v13
	s_delay_alu instid0(VALU_DEP_2) | instskip(NEXT) | instid1(VALU_DEP_1)
	v_sub_co_u32 v3, vcc_lo, v16, v12
	v_sub_co_ci_u32_e64 v9, null, v18, v13, vcc_lo
	s_delay_alu instid0(VALU_DEP_3) | instskip(NEXT) | instid1(VALU_DEP_3)
	v_subrev_co_ci_u32_e64 v1, null, s43, v1, vcc_lo
	v_sub_co_u32 v5, s0, v3, s42
	v_add_nc_u64_e32 v[16:17], 1, v[10:11]
	s_delay_alu instid0(VALU_DEP_3) | instskip(NEXT) | instid1(VALU_DEP_3)
	v_subrev_co_ci_u32_e64 v1, null, 0, v1, s0
	v_cmp_le_u32_e32 vcc_lo, s42, v5
	v_cndmask_b32_e64 v5, 0, -1, vcc_lo
	s_delay_alu instid0(VALU_DEP_3)
	v_cmp_le_u32_e32 vcc_lo, s43, v1
	v_cndmask_b32_e64 v12, 0, -1, vcc_lo
	v_cmp_le_u32_e32 vcc_lo, s42, v3
	v_cndmask_b32_e64 v3, 0, -1, vcc_lo
	;; [unrolled: 2-line block ×3, first 2 shown]
	v_cmp_eq_u32_e32 vcc_lo, s43, v1
	v_cndmask_b32_e32 v1, v12, v5, vcc_lo
	v_cmp_eq_u32_e32 vcc_lo, s43, v9
	v_add_nc_u64_e32 v[12:13], 2, v[10:11]
	v_cndmask_b32_e32 v3, v15, v3, vcc_lo
	s_delay_alu instid0(VALU_DEP_4) | instskip(NEXT) | instid1(VALU_DEP_2)
	v_cmp_ne_u32_e32 vcc_lo, 0, v1
	v_cmp_ne_u32_e64 s0, 0, v3
	s_delay_alu instid0(VALU_DEP_4) | instskip(NEXT) | instid1(VALU_DEP_1)
	v_dual_cndmask_b32 v1, v17, v13, vcc_lo :: v_dual_cndmask_b32 v3, v16, v12, vcc_lo
                                        ; implicit-def: $vgpr12_vgpr13
	v_dual_cndmask_b32 v1, v11, v1, s0 :: v_dual_cndmask_b32 v3, v10, v3, s0
	s_delay_alu instid0(VALU_DEP_1) | instskip(NEXT) | instid1(VALU_DEP_2)
	v_dual_mov_b32 v9, v8 :: v_dual_bitop2_b32 v11, v1, v8 bitop3:0x14
	v_xor_b32_e32 v10, v3, v8
	s_delay_alu instid0(VALU_DEP_1)
	v_sub_nc_u64_e32 v[8:9], v[10:11], v[8:9]
.LBB11_17:
	s_and_not1_saveexec_b32 s0, s44
	s_cbranch_execz .LBB11_19
; %bb.18:
	v_cvt_f32_u32_e32 v1, s12
	s_sub_co_i32 s14, 0, s12
	v_mov_b32_e32 v9, 0
	s_delay_alu instid0(VALU_DEP_2) | instskip(SKIP_1) | instid1(TRANS32_DEP_1)
	v_rcp_iflag_f32_e32 v1, v1
	v_nop
	v_mul_f32_e32 v1, 0x4f7ffffe, v1
	s_delay_alu instid0(VALU_DEP_1) | instskip(NEXT) | instid1(VALU_DEP_1)
	v_cvt_u32_f32_e32 v1, v1
	v_mul_lo_u32 v3, s14, v1
	s_delay_alu instid0(VALU_DEP_1) | instskip(NEXT) | instid1(VALU_DEP_1)
	v_mul_hi_u32 v3, v1, v3
	v_add_nc_u32_e32 v1, v1, v3
	s_delay_alu instid0(VALU_DEP_1) | instskip(NEXT) | instid1(VALU_DEP_1)
	v_mul_hi_u32 v1, v12, v1
	v_mul_lo_u32 v3, v1, s12
	s_delay_alu instid0(VALU_DEP_1) | instskip(NEXT) | instid1(VALU_DEP_1)
	v_sub_nc_u32_e32 v3, v12, v3
	v_subrev_nc_u32_e32 v8, s12, v3
	v_cmp_le_u32_e32 vcc_lo, s12, v3
	s_delay_alu instid0(VALU_DEP_2) | instskip(NEXT) | instid1(VALU_DEP_1)
	v_dual_add_nc_u32 v5, 1, v1 :: v_dual_cndmask_b32 v3, v3, v8, vcc_lo
	v_cndmask_b32_e32 v1, v1, v5, vcc_lo
	s_delay_alu instid0(VALU_DEP_2) | instskip(NEXT) | instid1(VALU_DEP_2)
	v_cmp_le_u32_e32 vcc_lo, s12, v3
	v_add_nc_u32_e32 v5, 1, v1
	s_delay_alu instid0(VALU_DEP_1)
	v_cndmask_b32_e32 v8, v1, v5, vcc_lo
.LBB11_19:
	s_or_b32 exec_lo, exec_lo, s0
.LBB11_20:
	s_delay_alu instid0(SALU_CYCLE_1) | instskip(SKIP_2) | instid1(VALU_DEP_1)
	s_or_b32 exec_lo, exec_lo, s1
	v_dual_mov_b32 v10, 0 :: v_dual_bitop2_b32 v11, s13, v7 bitop3:0x54
                                        ; implicit-def: $vgpr12_vgpr13
	s_mov_b32 s0, exec_lo
	v_cmpx_ne_u64_e32 0, v[10:11]
	s_xor_b32 s1, exec_lo, s0
	s_cbranch_execz .LBB11_22
; %bb.21:
	s_ashr_i32 s14, s13, 31
	s_mov_b32 s51, 0
	s_mov_b32 s15, s14
	v_dual_mov_b32 v19, v10 :: v_dual_ashrrev_i32 v12, 31, v7
	s_add_nc_u64 s[42:43], s[12:13], s[14:15]
	v_mov_b32_e32 v21, v10
	s_xor_b64 s[42:43], s[42:43], s[14:15]
	s_delay_alu instid0(VALU_DEP_2)
	v_mov_b32_e32 v13, v12
	s_cvt_f32_u32 s0, s42
	s_cvt_f32_u32 s15, s43
	s_sub_nc_u64 s[46:47], 0, s[42:43]
	v_mov_b32_e32 v27, v10
	v_add_nc_u64_e32 v[16:17], v[6:7], v[12:13]
	s_fmamk_f32 s0, s15, 0x4f800000, s0
	v_mov_b32_e32 v11, v10
	s_delay_alu instid0(SALU_CYCLE_2) | instskip(NEXT) | instid1(VALU_DEP_2)
	v_s_rcp_f32 s0, s0
	v_xor_b32_e32 v18, v16, v12
	s_delay_alu instid0(VALU_DEP_3) | instskip(SKIP_1) | instid1(TRANS32_DEP_1)
	v_xor_b32_e32 v20, v17, v12
	v_xor_b32_e32 v12, s14, v12
	s_mul_f32 s0, s0, 0x5f7ffffc
	s_delay_alu instid0(SALU_CYCLE_3) | instskip(NEXT) | instid1(SALU_CYCLE_3)
	s_mul_f32 s15, s0, 0x2f800000
	s_trunc_f32 s15, s15
	s_delay_alu instid0(SALU_CYCLE_3) | instskip(SKIP_1) | instid1(SALU_CYCLE_2)
	s_fmamk_f32 s0, s15, 0xcf800000, s0
	s_cvt_u32_f32 s45, s15
	s_cvt_u32_f32 s44, s0
	s_delay_alu instid0(SALU_CYCLE_3) | instskip(NEXT) | instid1(SALU_CYCLE_1)
	s_mul_u64 s[48:49], s[46:47], s[44:45]
	s_mul_hi_u32 s53, s44, s49
	s_mul_i32 s52, s44, s49
	s_mul_hi_u32 s50, s44, s48
	s_mul_i32 s15, s45, s48
	s_add_nc_u64 s[52:53], s[50:51], s[52:53]
	s_mul_hi_u32 s0, s45, s48
	s_mul_hi_u32 s54, s45, s49
	s_add_co_u32 s15, s52, s15
	s_add_co_ci_u32 s50, s53, s0
	s_mul_i32 s48, s45, s49
	s_add_co_ci_u32 s49, s54, 0
	s_delay_alu instid0(SALU_CYCLE_1) | instskip(NEXT) | instid1(SALU_CYCLE_1)
	s_add_nc_u64 s[48:49], s[50:51], s[48:49]
	s_add_co_u32 s44, s44, s48
	s_cselect_b32 s0, -1, 0
	s_delay_alu instid0(SALU_CYCLE_1) | instskip(SKIP_1) | instid1(SALU_CYCLE_1)
	s_cmp_lg_u32 s0, 0
	s_add_co_ci_u32 s45, s45, s49
	s_mul_u64 s[46:47], s[46:47], s[44:45]
	s_delay_alu instid0(SALU_CYCLE_1)
	s_mul_hi_u32 s49, s44, s47
	s_mul_i32 s48, s44, s47
	s_mul_hi_u32 s50, s44, s46
	s_mul_i32 s15, s45, s46
	s_add_nc_u64 s[48:49], s[50:51], s[48:49]
	s_mul_hi_u32 s0, s45, s46
	s_mul_hi_u32 s52, s45, s47
	s_add_co_u32 s15, s48, s15
	s_add_co_ci_u32 s50, s49, s0
	s_mul_i32 s46, s45, s47
	s_add_co_ci_u32 s47, s52, 0
	s_delay_alu instid0(SALU_CYCLE_1) | instskip(NEXT) | instid1(SALU_CYCLE_1)
	s_add_nc_u64 s[46:47], s[50:51], s[46:47]
	s_add_co_u32 s0, s44, s46
	s_cselect_b32 s15, -1, 0
	v_mul_hi_u32 v26, v18, s0
	s_cmp_lg_u32 s15, 0
	s_add_co_ci_u32 s50, s45, s47
	s_mov_b64 s[44:45], 0xffffffff
	v_mul_u64_e32 v[22:23], s[50:51], v[18:19]
	s_and_b64 s[44:45], s[0:1], s[44:45]
	v_mul_u64_e32 v[24:25], s[50:51], v[20:21]
	v_mul_u64_e32 v[16:17], s[44:45], v[20:21]
	s_delay_alu instid0(VALU_DEP_3) | instskip(NEXT) | instid1(VALU_DEP_1)
	v_add_nc_u64_e32 v[22:23], v[26:27], v[22:23]
	v_add_co_u32 v1, vcc_lo, v22, v16
	s_delay_alu instid0(VALU_DEP_2) | instskip(SKIP_1) | instid1(VALU_DEP_1)
	v_add_co_ci_u32_e32 v10, vcc_lo, v23, v17, vcc_lo
	v_add_co_ci_u32_e32 v25, vcc_lo, 0, v25, vcc_lo
	v_add_nc_u64_e32 v[10:11], v[10:11], v[24:25]
	s_delay_alu instid0(VALU_DEP_1) | instskip(NEXT) | instid1(VALU_DEP_1)
	v_mul_u64_e32 v[16:17], s[42:43], v[10:11]
	v_sub_nc_u32_e32 v1, v20, v17
	s_delay_alu instid0(VALU_DEP_2) | instskip(NEXT) | instid1(VALU_DEP_1)
	v_sub_co_u32 v3, vcc_lo, v18, v16
	v_sub_co_ci_u32_e64 v13, null, v20, v17, vcc_lo
	s_delay_alu instid0(VALU_DEP_3) | instskip(NEXT) | instid1(VALU_DEP_3)
	v_subrev_co_ci_u32_e64 v1, null, s43, v1, vcc_lo
	v_sub_co_u32 v5, s0, v3, s42
	v_add_nc_u64_e32 v[16:17], 2, v[10:11]
	s_delay_alu instid0(VALU_DEP_3) | instskip(NEXT) | instid1(VALU_DEP_3)
	v_subrev_co_ci_u32_e64 v1, null, 0, v1, s0
	v_cmp_le_u32_e32 vcc_lo, s42, v5
	v_add_nc_u64_e32 v[18:19], 1, v[10:11]
	v_cndmask_b32_e64 v5, 0, -1, vcc_lo
	s_delay_alu instid0(VALU_DEP_4)
	v_cmp_le_u32_e32 vcc_lo, s43, v1
	v_cndmask_b32_e64 v15, 0, -1, vcc_lo
	v_cmp_le_u32_e32 vcc_lo, s42, v3
	v_cndmask_b32_e64 v3, 0, -1, vcc_lo
	;; [unrolled: 2-line block ×3, first 2 shown]
	v_cmp_eq_u32_e32 vcc_lo, s43, v1
	v_cndmask_b32_e32 v1, v15, v5, vcc_lo
	v_cmp_eq_u32_e32 vcc_lo, s43, v13
	s_delay_alu instid0(VALU_DEP_4) | instskip(NEXT) | instid1(VALU_DEP_3)
	v_cndmask_b32_e32 v3, v20, v3, vcc_lo
	v_cmp_ne_u32_e32 vcc_lo, 0, v1
	s_delay_alu instid0(VALU_DEP_2) | instskip(SKIP_1) | instid1(VALU_DEP_1)
	v_cmp_ne_u32_e64 s0, 0, v3
	v_dual_cndmask_b32 v1, v19, v17, vcc_lo :: v_dual_cndmask_b32 v3, v18, v16, vcc_lo
	v_dual_cndmask_b32 v1, v11, v1, s0 :: v_dual_cndmask_b32 v3, v10, v3, s0
	s_delay_alu instid0(VALU_DEP_1) | instskip(NEXT) | instid1(VALU_DEP_2)
	v_dual_mov_b32 v13, v12 :: v_dual_bitop2_b32 v11, v1, v12 bitop3:0x14
	v_xor_b32_e32 v10, v3, v12
	s_delay_alu instid0(VALU_DEP_1)
	v_sub_nc_u64_e32 v[12:13], v[10:11], v[12:13]
.LBB11_22:
	s_and_not1_saveexec_b32 s0, s1
	s_cbranch_execz .LBB11_24
; %bb.23:
	v_cvt_f32_u32_e32 v1, s12
	s_sub_co_i32 s1, 0, s12
	v_mov_b32_e32 v13, 0
	s_delay_alu instid0(VALU_DEP_2) | instskip(SKIP_1) | instid1(TRANS32_DEP_1)
	v_rcp_iflag_f32_e32 v1, v1
	v_nop
	v_mul_f32_e32 v1, 0x4f7ffffe, v1
	s_delay_alu instid0(VALU_DEP_1) | instskip(NEXT) | instid1(VALU_DEP_1)
	v_cvt_u32_f32_e32 v1, v1
	v_mul_lo_u32 v3, s1, v1
	s_delay_alu instid0(VALU_DEP_1) | instskip(NEXT) | instid1(VALU_DEP_1)
	v_mul_hi_u32 v3, v1, v3
	v_add_nc_u32_e32 v1, v1, v3
	s_delay_alu instid0(VALU_DEP_1) | instskip(NEXT) | instid1(VALU_DEP_1)
	v_mul_hi_u32 v1, v6, v1
	v_mul_lo_u32 v3, v1, s12
	s_delay_alu instid0(VALU_DEP_1) | instskip(NEXT) | instid1(VALU_DEP_1)
	v_sub_nc_u32_e32 v3, v6, v3
	v_subrev_nc_u32_e32 v10, s12, v3
	v_cmp_le_u32_e32 vcc_lo, s12, v3
	s_delay_alu instid0(VALU_DEP_2) | instskip(NEXT) | instid1(VALU_DEP_1)
	v_dual_add_nc_u32 v5, 1, v1 :: v_dual_cndmask_b32 v3, v3, v10, vcc_lo
	v_cndmask_b32_e32 v1, v1, v5, vcc_lo
	s_delay_alu instid0(VALU_DEP_2) | instskip(NEXT) | instid1(VALU_DEP_2)
	v_cmp_le_u32_e32 vcc_lo, s12, v3
	v_add_nc_u32_e32 v5, 1, v1
	s_delay_alu instid0(VALU_DEP_1)
	v_cndmask_b32_e32 v12, v1, v5, vcc_lo
.LBB11_24:
	s_or_b32 exec_lo, exec_lo, s0
	v_mul_u64_e32 v[16:17], s[12:13], v[8:9]
	s_delay_alu instid0(VALU_DEP_2) | instskip(SKIP_2) | instid1(VALU_DEP_2)
	v_min_i64 v[10:11], v[12:13], s[2:3]
	s_mov_b32 s1, 0
	s_mov_b32 s42, exec_lo
	v_add_nc_u64_e32 v[12:13], s[10:11], v[16:17]
	v_cmp_gt_i64_e32 vcc_lo, v[16:17], v[6:7]
	s_delay_alu instid0(VALU_DEP_2) | instskip(SKIP_2) | instid1(SALU_CYCLE_1)
	v_cmp_ge_i64_e64 s0, v[6:7], v[12:13]
	v_mov_b32_e32 v13, s1
	s_or_b32 s0, vcc_lo, s0
	v_cndmask_b32_e64 v12, 0, 1, s0
	s_delay_alu instid0(VALU_DEP_1) | instskip(NEXT) | instid1(VALU_DEP_1)
	v_add_nc_u64_e32 v[8:9], v[8:9], v[12:13]
	v_cmpx_le_i64_e64 v[8:9], v[10:11]
	s_cbranch_execz .LBB11_27
; %bb.25:
	global_load_u16 v1, v2, s[4:5]
	v_mul_u64_e32 v[12:13], s[12:13], v[8:9]
	v_mov_b32_e32 v3, 0
	s_mul_u64 s[14:15], s[12:13], s[18:19]
	s_lshl_b64 s[44:45], s[16:17], 1
	s_lshl_b64 s[14:15], s[14:15], 1
	s_delay_alu instid0(VALU_DEP_1) | instskip(SKIP_3) | instid1(VALU_DEP_4)
	v_mov_b32_e32 v5, v3
	s_wait_xcnt 0x0
	v_add_nc_u64_e32 v[2:3], s[4:5], v[2:3]
	s_sub_nc_u64 s[14:15], s[44:45], s[14:15]
	v_sub_nc_u64_e32 v[6:7], v[6:7], v[12:13]
	v_mul_u64_e32 v[12:13], s[16:17], v[8:9]
	s_delay_alu instid0(VALU_DEP_2) | instskip(NEXT) | instid1(VALU_DEP_2)
	v_mul_u64_e32 v[6:7], s[18:19], v[6:7]
	v_lshlrev_b64_e32 v[12:13], 1, v[12:13]
	s_delay_alu instid0(VALU_DEP_1) | instskip(NEXT) | instid1(VALU_DEP_1)
	v_lshl_add_u64 v[6:7], v[6:7], 1, v[12:13]
	v_add_nc_u64_e32 v[6:7], v[6:7], v[4:5]
	v_add_nc_u64_e32 v[4:5], -1, v[8:9]
	s_delay_alu instid0(VALU_DEP_2)
	v_add_nc_u64_e32 v[6:7], s[6:7], v[6:7]
.LBB11_26:                              ; =>This Inner Loop Header: Depth=1
	global_load_u16 v8, v[6:7], off
	s_wait_loadcnt 0x1
	v_lshlrev_b32_e32 v1, 16, v1
	v_add_nc_u64_e32 v[4:5], 1, v[4:5]
	s_wait_xcnt 0x0
	v_add_nc_u64_e32 v[6:7], s[14:15], v[6:7]
	s_delay_alu instid0(VALU_DEP_2) | instskip(SKIP_3) | instid1(VALU_DEP_1)
	v_cmp_ge_i64_e32 vcc_lo, v[4:5], v[10:11]
	s_or_b32 s1, vcc_lo, s1
	s_wait_loadcnt 0x0
	v_lshlrev_b32_e32 v8, 16, v8
	v_add_f32_e32 v1, v8, v1
	s_delay_alu instid0(VALU_DEP_1) | instskip(NEXT) | instid1(VALU_DEP_1)
	v_bfe_u32 v8, v1, 16, 1
	v_add3_u32 v8, v1, v8, 0x7fff
	s_delay_alu instid0(VALU_DEP_1) | instskip(SKIP_1) | instid1(VALU_DEP_1)
	v_lshrrev_b32_e32 v8, 16, v8
	v_cmp_o_f32_e64 s0, v1, v1
	v_cndmask_b32_e64 v1, 0x7fc0, v8, s0
	global_store_b16 v[2:3], v1, off
	s_wait_xcnt 0x0
	s_and_not1_b32 exec_lo, exec_lo, s1
	s_cbranch_execnz .LBB11_26
.LBB11_27:
	s_or_b32 exec_lo, exec_lo, s42
	v_add_nc_u32_e32 v0, 0x100, v0
	s_or_b32 exec_lo, exec_lo, s29
	s_delay_alu instid0(SALU_CYCLE_1) | instskip(NEXT) | instid1(VALU_DEP_1)
	s_mov_b32 s29, exec_lo
	v_cmpx_gt_i32_e64 s31, v0
	s_cbranch_execz .LBB11_2
.LBB11_28:
	v_cmp_ne_u32_e32 vcc_lo, 1, v14
	s_cbranch_vccnz .LBB11_35
; %bb.29:
	v_dual_mov_b32 v3, 0 :: v_dual_mov_b32 v4, 0
	v_mov_b32_e32 v2, 0
	s_and_not1_b32 vcc_lo, exec_lo, s33
	s_cbranch_vccnz .LBB11_34
; %bb.30:
	v_dual_mov_b32 v2, 0 :: v_dual_mov_b32 v1, v0
	v_dual_mov_b32 v4, 0 :: v_dual_mov_b32 v3, 0
	s_add_co_i32 s14, s22, 1
	s_mov_b64 s[0:1], 0xffffffffffffffe8
	s_and_b32 s14, s14, 30
	s_add_nc_u64 s[0:1], s[40:41], s[0:1]
.LBB11_31:                              ; =>This Inner Loop Header: Depth=1
	s_clause 0x1
	s_load_b128 s[44:47], s[0:1], 0x1c
	s_load_b64 s[42:43], s[0:1], 0x2c
	s_add_co_i32 s14, s14, -2
	s_delay_alu instid0(SALU_CYCLE_1) | instskip(SKIP_2) | instid1(VALU_DEP_1)
	s_cmp_eq_u32 s14, 0
	s_wait_kmcnt 0x0
	v_mul_hi_u32 v5, s45, v1
	v_add_nc_u32_e32 v5, v1, v5
	s_delay_alu instid0(VALU_DEP_1) | instskip(NEXT) | instid1(VALU_DEP_1)
	v_lshrrev_b32_e32 v5, s46, v5
	v_mul_hi_u32 v6, s42, v5
	v_mul_lo_u32 v7, v5, s44
	s_clause 0x1
	s_load_b128 s[48:51], s[0:1], 0xdc
	s_load_b64 s[44:45], s[0:1], 0xec
	s_wait_xcnt 0x0
	s_add_nc_u64 s[0:1], s[0:1], 24
	s_delay_alu instid0(VALU_DEP_2) | instskip(NEXT) | instid1(VALU_DEP_1)
	v_add_nc_u32_e32 v6, v5, v6
	v_dual_sub_nc_u32 v7, v1, v7 :: v_dual_lshrrev_b32 v1, s43, v6
	s_wait_kmcnt 0x0
	s_delay_alu instid0(VALU_DEP_1) | instskip(NEXT) | instid1(VALU_DEP_2)
	v_mad_u32 v2, v7, s48, v2
	v_mul_lo_u32 v6, v1, s47
	v_mad_u32 v3, v7, s50, v3
	v_mad_u32 v4, v7, s49, v4
	s_delay_alu instid0(VALU_DEP_3) | instskip(NEXT) | instid1(VALU_DEP_1)
	v_sub_nc_u32_e32 v5, v5, v6
	v_mad_u32 v2, v5, s51, v2
	s_delay_alu instid0(VALU_DEP_4) | instskip(NEXT) | instid1(VALU_DEP_4)
	v_mad_u32 v3, v5, s45, v3
	v_mad_u32 v4, v5, s44, v4
	s_cbranch_scc0 .LBB11_31
; %bb.32:
	s_bitcmp1_b32 s22, 0
	s_cselect_b32 s14, -1, 0
	s_delay_alu instid0(SALU_CYCLE_1)
	s_and_b32 vcc_lo, exec_lo, s14
	s_cbranch_vccnz .LBB11_34
; %bb.33:
	s_clause 0x1
	s_load_b96 s[44:46], s[0:1], 0x1c
	s_load_b96 s[48:50], s[0:1], 0xdc
	s_wait_kmcnt 0x0
	v_mul_hi_u32 v5, s45, v1
	s_delay_alu instid0(VALU_DEP_1) | instskip(NEXT) | instid1(VALU_DEP_1)
	v_add_nc_u32_e32 v5, v1, v5
	v_lshrrev_b32_e32 v5, s46, v5
	s_delay_alu instid0(VALU_DEP_1) | instskip(NEXT) | instid1(VALU_DEP_1)
	v_mul_lo_u32 v5, v5, s44
	v_sub_nc_u32_e32 v1, v1, v5
	s_delay_alu instid0(VALU_DEP_1)
	v_mad_u32 v2, v1, s48, v2
	v_mad_u32 v4, v1, s49, v4
	;; [unrolled: 1-line block ×3, first 2 shown]
.LBB11_34:
	s_cbranch_execz .LBB11_36
	s_branch .LBB11_38
.LBB11_35:
                                        ; implicit-def: $vgpr3
                                        ; implicit-def: $vgpr4
                                        ; implicit-def: $vgpr2
.LBB11_36:
	v_mov_b32_e32 v1, 0
	s_and_not1_b32 vcc_lo, exec_lo, s20
	s_delay_alu instid0(VALU_DEP_1) | instskip(NEXT) | instid1(VALU_DEP_1)
	v_mul_u64_e32 v[2:3], s[36:37], v[0:1]
	v_add_nc_u32_e32 v2, v0, v3
	s_delay_alu instid0(VALU_DEP_1) | instskip(NEXT) | instid1(VALU_DEP_1)
	v_lshrrev_b32_e32 v6, s23, v2
	v_mul_lo_u32 v2, v6, s21
	s_delay_alu instid0(VALU_DEP_1) | instskip(NEXT) | instid1(VALU_DEP_1)
	v_sub_nc_u32_e32 v4, v0, v2
	v_mul_lo_u32 v2, v4, s24
	v_mul_lo_u32 v3, v4, s26
	;; [unrolled: 1-line block ×3, first 2 shown]
	s_cbranch_vccnz .LBB11_38
; %bb.37:
	v_mov_b32_e32 v7, v1
	s_delay_alu instid0(VALU_DEP_1) | instskip(NEXT) | instid1(VALU_DEP_1)
	v_mul_u64_e32 v[8:9], s[38:39], v[6:7]
	v_add_nc_u32_e32 v1, v6, v9
	s_delay_alu instid0(VALU_DEP_1) | instskip(NEXT) | instid1(VALU_DEP_1)
	v_lshrrev_b32_e32 v1, s30, v1
	v_mul_lo_u32 v1, v1, s28
	s_delay_alu instid0(VALU_DEP_1) | instskip(NEXT) | instid1(VALU_DEP_1)
	v_sub_nc_u32_e32 v1, v6, v1
	v_mad_u32 v2, v1, s27, v2
	v_mad_u32 v4, v1, s34, v4
	;; [unrolled: 1-line block ×3, first 2 shown]
.LBB11_38:
	global_load_b64 v[6:7], v3, s[8:9]
	v_mov_b64_e32 v[8:9], 0
	s_mov_b32 s1, exec_lo
	s_wait_loadcnt 0x0
	v_cmpx_lt_i64_e64 s[10:11], v[6:7]
	s_cbranch_execz .LBB11_44
; %bb.39:
	v_sub_nc_u64_e64 v[12:13], v[6:7], s[10:11]
                                        ; implicit-def: $vgpr8_vgpr9
	s_mov_b32 s0, exec_lo
	s_delay_alu instid0(VALU_DEP_1) | instskip(NEXT) | instid1(VALU_DEP_1)
	v_dual_mov_b32 v10, 0 :: v_dual_bitop2_b32 v11, s13, v13 bitop3:0x54
	v_cmpx_ne_u64_e32 0, v[10:11]
	s_xor_b32 s44, exec_lo, s0
	s_cbranch_execz .LBB11_41
; %bb.40:
	s_ashr_i32 s14, s13, 31
	s_mov_b32 s53, 0
	s_mov_b32 s15, s14
	v_dual_mov_b32 v17, v10 :: v_dual_ashrrev_i32 v8, 31, v13
	s_add_nc_u64 s[42:43], s[12:13], s[14:15]
	v_mov_b32_e32 v19, v10
	s_xor_b64 s[42:43], s[42:43], s[14:15]
	s_delay_alu instid0(VALU_DEP_2)
	v_mov_b32_e32 v9, v8
	s_cvt_f32_u32 s0, s42
	s_cvt_f32_u32 s15, s43
	s_sub_nc_u64 s[48:49], 0, s[42:43]
	v_mov_b32_e32 v25, v10
	v_add_nc_u64_e32 v[12:13], v[12:13], v[8:9]
	s_fmamk_f32 s0, s15, 0x4f800000, s0
	v_mov_b32_e32 v11, v10
	s_delay_alu instid0(SALU_CYCLE_2) | instskip(NEXT) | instid1(VALU_DEP_2)
	v_s_rcp_f32 s0, s0
	v_xor_b32_e32 v16, v12, v8
	s_delay_alu instid0(VALU_DEP_3) | instskip(SKIP_1) | instid1(TRANS32_DEP_1)
	v_xor_b32_e32 v18, v13, v8
	v_xor_b32_e32 v8, s14, v8
	s_mul_f32 s0, s0, 0x5f7ffffc
	s_delay_alu instid0(SALU_CYCLE_3) | instskip(NEXT) | instid1(SALU_CYCLE_3)
	s_mul_f32 s15, s0, 0x2f800000
	s_trunc_f32 s15, s15
	s_delay_alu instid0(SALU_CYCLE_3) | instskip(SKIP_1) | instid1(SALU_CYCLE_2)
	s_fmamk_f32 s0, s15, 0xcf800000, s0
	s_cvt_u32_f32 s47, s15
	s_cvt_u32_f32 s46, s0
	s_delay_alu instid0(SALU_CYCLE_3) | instskip(NEXT) | instid1(SALU_CYCLE_1)
	s_mul_u64 s[50:51], s[48:49], s[46:47]
	s_mul_hi_u32 s55, s46, s51
	s_mul_i32 s54, s46, s51
	s_mul_hi_u32 s52, s46, s50
	s_mul_i32 s15, s47, s50
	s_add_nc_u64 s[54:55], s[52:53], s[54:55]
	s_mul_hi_u32 s0, s47, s50
	s_mul_hi_u32 s45, s47, s51
	s_add_co_u32 s15, s54, s15
	s_add_co_ci_u32 s52, s55, s0
	s_mul_i32 s50, s47, s51
	s_add_co_ci_u32 s51, s45, 0
	s_delay_alu instid0(SALU_CYCLE_1) | instskip(NEXT) | instid1(SALU_CYCLE_1)
	s_add_nc_u64 s[50:51], s[52:53], s[50:51]
	s_add_co_u32 s46, s46, s50
	s_cselect_b32 s0, -1, 0
	s_delay_alu instid0(SALU_CYCLE_1) | instskip(SKIP_1) | instid1(SALU_CYCLE_1)
	s_cmp_lg_u32 s0, 0
	s_add_co_ci_u32 s47, s47, s51
	s_mul_u64 s[48:49], s[48:49], s[46:47]
	s_delay_alu instid0(SALU_CYCLE_1)
	s_mul_hi_u32 s51, s46, s49
	s_mul_i32 s50, s46, s49
	s_mul_hi_u32 s52, s46, s48
	s_mul_i32 s15, s47, s48
	s_add_nc_u64 s[50:51], s[52:53], s[50:51]
	s_mul_hi_u32 s0, s47, s48
	s_mul_hi_u32 s45, s47, s49
	s_add_co_u32 s15, s50, s15
	s_add_co_ci_u32 s52, s51, s0
	s_mul_i32 s48, s47, s49
	s_add_co_ci_u32 s49, s45, 0
	s_delay_alu instid0(SALU_CYCLE_1) | instskip(NEXT) | instid1(SALU_CYCLE_1)
	s_add_nc_u64 s[48:49], s[52:53], s[48:49]
	s_add_co_u32 s0, s46, s48
	s_cselect_b32 s15, -1, 0
	v_mul_hi_u32 v24, v16, s0
	s_cmp_lg_u32 s15, 0
	s_add_co_ci_u32 s52, s47, s49
	s_mov_b64 s[46:47], 0xffffffff
	v_mul_u64_e32 v[20:21], s[52:53], v[16:17]
	s_and_b64 s[46:47], s[0:1], s[46:47]
	v_mul_u64_e32 v[22:23], s[52:53], v[18:19]
	v_mul_u64_e32 v[12:13], s[46:47], v[18:19]
	s_delay_alu instid0(VALU_DEP_3) | instskip(NEXT) | instid1(VALU_DEP_1)
	v_add_nc_u64_e32 v[20:21], v[24:25], v[20:21]
	v_add_co_u32 v1, vcc_lo, v20, v12
	s_delay_alu instid0(VALU_DEP_2) | instskip(SKIP_1) | instid1(VALU_DEP_1)
	v_add_co_ci_u32_e32 v10, vcc_lo, v21, v13, vcc_lo
	v_add_co_ci_u32_e32 v23, vcc_lo, 0, v23, vcc_lo
	v_add_nc_u64_e32 v[10:11], v[10:11], v[22:23]
	s_delay_alu instid0(VALU_DEP_1) | instskip(NEXT) | instid1(VALU_DEP_1)
	v_mul_u64_e32 v[12:13], s[42:43], v[10:11]
	v_sub_nc_u32_e32 v1, v18, v13
	s_delay_alu instid0(VALU_DEP_2) | instskip(NEXT) | instid1(VALU_DEP_1)
	v_sub_co_u32 v3, vcc_lo, v16, v12
	v_sub_co_ci_u32_e64 v9, null, v18, v13, vcc_lo
	s_delay_alu instid0(VALU_DEP_3) | instskip(NEXT) | instid1(VALU_DEP_3)
	v_subrev_co_ci_u32_e64 v1, null, s43, v1, vcc_lo
	v_sub_co_u32 v5, s0, v3, s42
	v_add_nc_u64_e32 v[16:17], 1, v[10:11]
	s_delay_alu instid0(VALU_DEP_3) | instskip(NEXT) | instid1(VALU_DEP_3)
	v_subrev_co_ci_u32_e64 v1, null, 0, v1, s0
	v_cmp_le_u32_e32 vcc_lo, s42, v5
	v_cndmask_b32_e64 v5, 0, -1, vcc_lo
	s_delay_alu instid0(VALU_DEP_3)
	v_cmp_le_u32_e32 vcc_lo, s43, v1
	v_cndmask_b32_e64 v12, 0, -1, vcc_lo
	v_cmp_le_u32_e32 vcc_lo, s42, v3
	v_cndmask_b32_e64 v3, 0, -1, vcc_lo
	;; [unrolled: 2-line block ×3, first 2 shown]
	v_cmp_eq_u32_e32 vcc_lo, s43, v1
	v_cndmask_b32_e32 v1, v12, v5, vcc_lo
	v_cmp_eq_u32_e32 vcc_lo, s43, v9
	v_add_nc_u64_e32 v[12:13], 2, v[10:11]
	v_cndmask_b32_e32 v3, v15, v3, vcc_lo
	s_delay_alu instid0(VALU_DEP_4) | instskip(NEXT) | instid1(VALU_DEP_2)
	v_cmp_ne_u32_e32 vcc_lo, 0, v1
	v_cmp_ne_u32_e64 s0, 0, v3
	s_delay_alu instid0(VALU_DEP_4) | instskip(NEXT) | instid1(VALU_DEP_1)
	v_dual_cndmask_b32 v1, v17, v13, vcc_lo :: v_dual_cndmask_b32 v3, v16, v12, vcc_lo
                                        ; implicit-def: $vgpr12_vgpr13
	v_dual_cndmask_b32 v1, v11, v1, s0 :: v_dual_cndmask_b32 v3, v10, v3, s0
	s_delay_alu instid0(VALU_DEP_1) | instskip(NEXT) | instid1(VALU_DEP_2)
	v_dual_mov_b32 v9, v8 :: v_dual_bitop2_b32 v11, v1, v8 bitop3:0x14
	v_xor_b32_e32 v10, v3, v8
	s_delay_alu instid0(VALU_DEP_1)
	v_sub_nc_u64_e32 v[8:9], v[10:11], v[8:9]
.LBB11_41:
	s_and_not1_saveexec_b32 s0, s44
	s_cbranch_execz .LBB11_43
; %bb.42:
	v_cvt_f32_u32_e32 v1, s12
	s_sub_co_i32 s14, 0, s12
	v_mov_b32_e32 v9, 0
	s_delay_alu instid0(VALU_DEP_2) | instskip(SKIP_1) | instid1(TRANS32_DEP_1)
	v_rcp_iflag_f32_e32 v1, v1
	v_nop
	v_mul_f32_e32 v1, 0x4f7ffffe, v1
	s_delay_alu instid0(VALU_DEP_1) | instskip(NEXT) | instid1(VALU_DEP_1)
	v_cvt_u32_f32_e32 v1, v1
	v_mul_lo_u32 v3, s14, v1
	s_delay_alu instid0(VALU_DEP_1) | instskip(NEXT) | instid1(VALU_DEP_1)
	v_mul_hi_u32 v3, v1, v3
	v_add_nc_u32_e32 v1, v1, v3
	s_delay_alu instid0(VALU_DEP_1) | instskip(NEXT) | instid1(VALU_DEP_1)
	v_mul_hi_u32 v1, v12, v1
	v_mul_lo_u32 v3, v1, s12
	s_delay_alu instid0(VALU_DEP_1) | instskip(NEXT) | instid1(VALU_DEP_1)
	v_sub_nc_u32_e32 v3, v12, v3
	v_subrev_nc_u32_e32 v8, s12, v3
	v_cmp_le_u32_e32 vcc_lo, s12, v3
	s_delay_alu instid0(VALU_DEP_2) | instskip(NEXT) | instid1(VALU_DEP_1)
	v_dual_add_nc_u32 v5, 1, v1 :: v_dual_cndmask_b32 v3, v3, v8, vcc_lo
	v_cndmask_b32_e32 v1, v1, v5, vcc_lo
	s_delay_alu instid0(VALU_DEP_2) | instskip(NEXT) | instid1(VALU_DEP_2)
	v_cmp_le_u32_e32 vcc_lo, s12, v3
	v_add_nc_u32_e32 v5, 1, v1
	s_delay_alu instid0(VALU_DEP_1)
	v_cndmask_b32_e32 v8, v1, v5, vcc_lo
.LBB11_43:
	s_or_b32 exec_lo, exec_lo, s0
.LBB11_44:
	s_delay_alu instid0(SALU_CYCLE_1) | instskip(SKIP_2) | instid1(VALU_DEP_1)
	s_or_b32 exec_lo, exec_lo, s1
	v_dual_mov_b32 v10, 0 :: v_dual_bitop2_b32 v11, s13, v7 bitop3:0x54
                                        ; implicit-def: $vgpr12_vgpr13
	s_mov_b32 s0, exec_lo
	v_cmpx_ne_u64_e32 0, v[10:11]
	s_xor_b32 s1, exec_lo, s0
	s_cbranch_execz .LBB11_46
; %bb.45:
	s_ashr_i32 s14, s13, 31
	s_mov_b32 s51, 0
	s_mov_b32 s15, s14
	v_dual_mov_b32 v19, v10 :: v_dual_ashrrev_i32 v12, 31, v7
	s_add_nc_u64 s[42:43], s[12:13], s[14:15]
	v_mov_b32_e32 v21, v10
	s_xor_b64 s[42:43], s[42:43], s[14:15]
	s_delay_alu instid0(VALU_DEP_2)
	v_mov_b32_e32 v13, v12
	s_cvt_f32_u32 s0, s42
	s_cvt_f32_u32 s15, s43
	s_sub_nc_u64 s[46:47], 0, s[42:43]
	v_mov_b32_e32 v27, v10
	v_add_nc_u64_e32 v[16:17], v[6:7], v[12:13]
	s_fmamk_f32 s0, s15, 0x4f800000, s0
	v_mov_b32_e32 v11, v10
	s_delay_alu instid0(SALU_CYCLE_2) | instskip(NEXT) | instid1(VALU_DEP_2)
	v_s_rcp_f32 s0, s0
	v_xor_b32_e32 v18, v16, v12
	s_delay_alu instid0(VALU_DEP_3) | instskip(SKIP_1) | instid1(TRANS32_DEP_1)
	v_xor_b32_e32 v20, v17, v12
	v_xor_b32_e32 v12, s14, v12
	s_mul_f32 s0, s0, 0x5f7ffffc
	s_delay_alu instid0(SALU_CYCLE_3) | instskip(NEXT) | instid1(SALU_CYCLE_3)
	s_mul_f32 s15, s0, 0x2f800000
	s_trunc_f32 s15, s15
	s_delay_alu instid0(SALU_CYCLE_3) | instskip(SKIP_1) | instid1(SALU_CYCLE_2)
	s_fmamk_f32 s0, s15, 0xcf800000, s0
	s_cvt_u32_f32 s45, s15
	s_cvt_u32_f32 s44, s0
	s_delay_alu instid0(SALU_CYCLE_3) | instskip(NEXT) | instid1(SALU_CYCLE_1)
	s_mul_u64 s[48:49], s[46:47], s[44:45]
	s_mul_hi_u32 s53, s44, s49
	s_mul_i32 s52, s44, s49
	s_mul_hi_u32 s50, s44, s48
	s_mul_i32 s15, s45, s48
	s_add_nc_u64 s[52:53], s[50:51], s[52:53]
	s_mul_hi_u32 s0, s45, s48
	s_mul_hi_u32 s54, s45, s49
	s_add_co_u32 s15, s52, s15
	s_add_co_ci_u32 s50, s53, s0
	s_mul_i32 s48, s45, s49
	s_add_co_ci_u32 s49, s54, 0
	s_delay_alu instid0(SALU_CYCLE_1) | instskip(NEXT) | instid1(SALU_CYCLE_1)
	s_add_nc_u64 s[48:49], s[50:51], s[48:49]
	s_add_co_u32 s44, s44, s48
	s_cselect_b32 s0, -1, 0
	s_delay_alu instid0(SALU_CYCLE_1) | instskip(SKIP_1) | instid1(SALU_CYCLE_1)
	s_cmp_lg_u32 s0, 0
	s_add_co_ci_u32 s45, s45, s49
	s_mul_u64 s[46:47], s[46:47], s[44:45]
	s_delay_alu instid0(SALU_CYCLE_1)
	s_mul_hi_u32 s49, s44, s47
	s_mul_i32 s48, s44, s47
	s_mul_hi_u32 s50, s44, s46
	s_mul_i32 s15, s45, s46
	s_add_nc_u64 s[48:49], s[50:51], s[48:49]
	s_mul_hi_u32 s0, s45, s46
	s_mul_hi_u32 s52, s45, s47
	s_add_co_u32 s15, s48, s15
	s_add_co_ci_u32 s50, s49, s0
	s_mul_i32 s46, s45, s47
	s_add_co_ci_u32 s47, s52, 0
	s_delay_alu instid0(SALU_CYCLE_1) | instskip(NEXT) | instid1(SALU_CYCLE_1)
	s_add_nc_u64 s[46:47], s[50:51], s[46:47]
	s_add_co_u32 s0, s44, s46
	s_cselect_b32 s15, -1, 0
	v_mul_hi_u32 v26, v18, s0
	s_cmp_lg_u32 s15, 0
	s_add_co_ci_u32 s50, s45, s47
	s_mov_b64 s[44:45], 0xffffffff
	v_mul_u64_e32 v[22:23], s[50:51], v[18:19]
	s_and_b64 s[44:45], s[0:1], s[44:45]
	v_mul_u64_e32 v[24:25], s[50:51], v[20:21]
	v_mul_u64_e32 v[16:17], s[44:45], v[20:21]
	s_delay_alu instid0(VALU_DEP_3) | instskip(NEXT) | instid1(VALU_DEP_1)
	v_add_nc_u64_e32 v[22:23], v[26:27], v[22:23]
	v_add_co_u32 v1, vcc_lo, v22, v16
	s_delay_alu instid0(VALU_DEP_2) | instskip(SKIP_1) | instid1(VALU_DEP_1)
	v_add_co_ci_u32_e32 v10, vcc_lo, v23, v17, vcc_lo
	v_add_co_ci_u32_e32 v25, vcc_lo, 0, v25, vcc_lo
	v_add_nc_u64_e32 v[10:11], v[10:11], v[24:25]
	s_delay_alu instid0(VALU_DEP_1) | instskip(NEXT) | instid1(VALU_DEP_1)
	v_mul_u64_e32 v[16:17], s[42:43], v[10:11]
	v_sub_nc_u32_e32 v1, v20, v17
	s_delay_alu instid0(VALU_DEP_2) | instskip(NEXT) | instid1(VALU_DEP_1)
	v_sub_co_u32 v3, vcc_lo, v18, v16
	v_sub_co_ci_u32_e64 v13, null, v20, v17, vcc_lo
	s_delay_alu instid0(VALU_DEP_3) | instskip(NEXT) | instid1(VALU_DEP_3)
	v_subrev_co_ci_u32_e64 v1, null, s43, v1, vcc_lo
	v_sub_co_u32 v5, s0, v3, s42
	v_add_nc_u64_e32 v[16:17], 2, v[10:11]
	s_delay_alu instid0(VALU_DEP_3) | instskip(NEXT) | instid1(VALU_DEP_3)
	v_subrev_co_ci_u32_e64 v1, null, 0, v1, s0
	v_cmp_le_u32_e32 vcc_lo, s42, v5
	v_add_nc_u64_e32 v[18:19], 1, v[10:11]
	v_cndmask_b32_e64 v5, 0, -1, vcc_lo
	s_delay_alu instid0(VALU_DEP_4)
	v_cmp_le_u32_e32 vcc_lo, s43, v1
	v_cndmask_b32_e64 v15, 0, -1, vcc_lo
	v_cmp_le_u32_e32 vcc_lo, s42, v3
	v_cndmask_b32_e64 v3, 0, -1, vcc_lo
	;; [unrolled: 2-line block ×3, first 2 shown]
	v_cmp_eq_u32_e32 vcc_lo, s43, v1
	v_cndmask_b32_e32 v1, v15, v5, vcc_lo
	v_cmp_eq_u32_e32 vcc_lo, s43, v13
	s_delay_alu instid0(VALU_DEP_4) | instskip(NEXT) | instid1(VALU_DEP_3)
	v_cndmask_b32_e32 v3, v20, v3, vcc_lo
	v_cmp_ne_u32_e32 vcc_lo, 0, v1
	s_delay_alu instid0(VALU_DEP_2) | instskip(SKIP_1) | instid1(VALU_DEP_1)
	v_cmp_ne_u32_e64 s0, 0, v3
	v_dual_cndmask_b32 v1, v19, v17, vcc_lo :: v_dual_cndmask_b32 v3, v18, v16, vcc_lo
	v_dual_cndmask_b32 v1, v11, v1, s0 :: v_dual_cndmask_b32 v3, v10, v3, s0
	s_delay_alu instid0(VALU_DEP_1) | instskip(NEXT) | instid1(VALU_DEP_2)
	v_dual_mov_b32 v13, v12 :: v_dual_bitop2_b32 v11, v1, v12 bitop3:0x14
	v_xor_b32_e32 v10, v3, v12
	s_delay_alu instid0(VALU_DEP_1)
	v_sub_nc_u64_e32 v[12:13], v[10:11], v[12:13]
.LBB11_46:
	s_and_not1_saveexec_b32 s0, s1
	s_cbranch_execz .LBB11_48
; %bb.47:
	v_cvt_f32_u32_e32 v1, s12
	s_sub_co_i32 s1, 0, s12
	v_mov_b32_e32 v13, 0
	s_delay_alu instid0(VALU_DEP_2) | instskip(SKIP_1) | instid1(TRANS32_DEP_1)
	v_rcp_iflag_f32_e32 v1, v1
	v_nop
	v_mul_f32_e32 v1, 0x4f7ffffe, v1
	s_delay_alu instid0(VALU_DEP_1) | instskip(NEXT) | instid1(VALU_DEP_1)
	v_cvt_u32_f32_e32 v1, v1
	v_mul_lo_u32 v3, s1, v1
	s_delay_alu instid0(VALU_DEP_1) | instskip(NEXT) | instid1(VALU_DEP_1)
	v_mul_hi_u32 v3, v1, v3
	v_add_nc_u32_e32 v1, v1, v3
	s_delay_alu instid0(VALU_DEP_1) | instskip(NEXT) | instid1(VALU_DEP_1)
	v_mul_hi_u32 v1, v6, v1
	v_mul_lo_u32 v3, v1, s12
	s_delay_alu instid0(VALU_DEP_1) | instskip(NEXT) | instid1(VALU_DEP_1)
	v_sub_nc_u32_e32 v3, v6, v3
	v_subrev_nc_u32_e32 v10, s12, v3
	v_cmp_le_u32_e32 vcc_lo, s12, v3
	s_delay_alu instid0(VALU_DEP_2) | instskip(NEXT) | instid1(VALU_DEP_1)
	v_dual_add_nc_u32 v5, 1, v1 :: v_dual_cndmask_b32 v3, v3, v10, vcc_lo
	v_cndmask_b32_e32 v1, v1, v5, vcc_lo
	s_delay_alu instid0(VALU_DEP_2) | instskip(NEXT) | instid1(VALU_DEP_2)
	v_cmp_le_u32_e32 vcc_lo, s12, v3
	v_add_nc_u32_e32 v5, 1, v1
	s_delay_alu instid0(VALU_DEP_1)
	v_cndmask_b32_e32 v12, v1, v5, vcc_lo
.LBB11_48:
	s_or_b32 exec_lo, exec_lo, s0
	v_mul_u64_e32 v[16:17], s[12:13], v[8:9]
	s_delay_alu instid0(VALU_DEP_2) | instskip(SKIP_2) | instid1(VALU_DEP_2)
	v_min_i64 v[10:11], v[12:13], s[2:3]
	s_mov_b32 s1, 0
	s_mov_b32 s42, exec_lo
	v_add_nc_u64_e32 v[12:13], s[10:11], v[16:17]
	v_cmp_gt_i64_e32 vcc_lo, v[16:17], v[6:7]
	s_delay_alu instid0(VALU_DEP_2) | instskip(SKIP_2) | instid1(SALU_CYCLE_1)
	v_cmp_ge_i64_e64 s0, v[6:7], v[12:13]
	v_mov_b32_e32 v13, s1
	s_or_b32 s0, vcc_lo, s0
	v_cndmask_b32_e64 v12, 0, 1, s0
	s_delay_alu instid0(VALU_DEP_1) | instskip(NEXT) | instid1(VALU_DEP_1)
	v_add_nc_u64_e32 v[8:9], v[8:9], v[12:13]
	v_cmpx_le_i64_e64 v[8:9], v[10:11]
	s_cbranch_execz .LBB11_51
; %bb.49:
	global_load_u16 v1, v2, s[4:5]
	v_mul_u64_e32 v[12:13], s[12:13], v[8:9]
	v_mov_b32_e32 v3, 0
	s_mul_u64 s[14:15], s[12:13], s[18:19]
	s_lshl_b64 s[44:45], s[16:17], 1
	s_lshl_b64 s[14:15], s[14:15], 1
	s_delay_alu instid0(VALU_DEP_1) | instskip(SKIP_3) | instid1(VALU_DEP_4)
	v_mov_b32_e32 v5, v3
	s_wait_xcnt 0x0
	v_add_nc_u64_e32 v[2:3], s[4:5], v[2:3]
	s_sub_nc_u64 s[14:15], s[44:45], s[14:15]
	v_sub_nc_u64_e32 v[6:7], v[6:7], v[12:13]
	v_mul_u64_e32 v[12:13], s[16:17], v[8:9]
	s_delay_alu instid0(VALU_DEP_2) | instskip(NEXT) | instid1(VALU_DEP_2)
	v_mul_u64_e32 v[6:7], s[18:19], v[6:7]
	v_lshlrev_b64_e32 v[12:13], 1, v[12:13]
	s_delay_alu instid0(VALU_DEP_1) | instskip(NEXT) | instid1(VALU_DEP_1)
	v_lshl_add_u64 v[6:7], v[6:7], 1, v[12:13]
	v_add_nc_u64_e32 v[6:7], v[6:7], v[4:5]
	v_add_nc_u64_e32 v[4:5], -1, v[8:9]
	s_delay_alu instid0(VALU_DEP_2)
	v_add_nc_u64_e32 v[6:7], s[6:7], v[6:7]
.LBB11_50:                              ; =>This Inner Loop Header: Depth=1
	global_load_u16 v8, v[6:7], off
	s_wait_loadcnt 0x1
	v_lshlrev_b32_e32 v1, 16, v1
	v_add_nc_u64_e32 v[4:5], 1, v[4:5]
	s_wait_xcnt 0x0
	v_add_nc_u64_e32 v[6:7], s[14:15], v[6:7]
	s_delay_alu instid0(VALU_DEP_2) | instskip(SKIP_3) | instid1(VALU_DEP_1)
	v_cmp_ge_i64_e32 vcc_lo, v[4:5], v[10:11]
	s_or_b32 s1, vcc_lo, s1
	s_wait_loadcnt 0x0
	v_lshlrev_b32_e32 v8, 16, v8
	v_add_f32_e32 v1, v8, v1
	s_delay_alu instid0(VALU_DEP_1) | instskip(NEXT) | instid1(VALU_DEP_1)
	v_bfe_u32 v8, v1, 16, 1
	v_add3_u32 v8, v1, v8, 0x7fff
	s_delay_alu instid0(VALU_DEP_1) | instskip(SKIP_1) | instid1(VALU_DEP_1)
	v_lshrrev_b32_e32 v8, 16, v8
	v_cmp_o_f32_e64 s0, v1, v1
	v_cndmask_b32_e64 v1, 0x7fc0, v8, s0
	global_store_b16 v[2:3], v1, off
	s_wait_xcnt 0x0
	s_and_not1_b32 exec_lo, exec_lo, s1
	s_cbranch_execnz .LBB11_50
.LBB11_51:
	s_or_b32 exec_lo, exec_lo, s42
	v_add_nc_u32_e32 v0, 0x100, v0
	s_or_b32 exec_lo, exec_lo, s29
	s_delay_alu instid0(SALU_CYCLE_1) | instskip(NEXT) | instid1(VALU_DEP_1)
	s_mov_b32 s29, exec_lo
	v_cmpx_gt_i32_e64 s31, v0
	s_cbranch_execz .LBB11_3
.LBB11_52:
	v_cmp_ne_u32_e32 vcc_lo, 1, v14
	s_cbranch_vccnz .LBB11_59
; %bb.53:
	v_dual_mov_b32 v3, 0 :: v_dual_mov_b32 v4, 0
	v_mov_b32_e32 v2, 0
	s_and_not1_b32 vcc_lo, exec_lo, s33
	s_cbranch_vccnz .LBB11_58
; %bb.54:
	v_dual_mov_b32 v2, 0 :: v_dual_mov_b32 v1, v0
	v_dual_mov_b32 v4, 0 :: v_dual_mov_b32 v3, 0
	s_add_co_i32 s14, s22, 1
	s_mov_b64 s[0:1], 0xffffffffffffffe8
	s_and_b32 s14, s14, 30
	s_add_nc_u64 s[0:1], s[40:41], s[0:1]
.LBB11_55:                              ; =>This Inner Loop Header: Depth=1
	s_clause 0x1
	s_load_b128 s[44:47], s[0:1], 0x1c
	s_load_b64 s[42:43], s[0:1], 0x2c
	s_add_co_i32 s14, s14, -2
	s_delay_alu instid0(SALU_CYCLE_1) | instskip(SKIP_2) | instid1(VALU_DEP_1)
	s_cmp_eq_u32 s14, 0
	s_wait_kmcnt 0x0
	v_mul_hi_u32 v5, s45, v1
	v_add_nc_u32_e32 v5, v1, v5
	s_delay_alu instid0(VALU_DEP_1) | instskip(NEXT) | instid1(VALU_DEP_1)
	v_lshrrev_b32_e32 v5, s46, v5
	v_mul_hi_u32 v6, s42, v5
	v_mul_lo_u32 v7, v5, s44
	s_clause 0x1
	s_load_b128 s[48:51], s[0:1], 0xdc
	s_load_b64 s[44:45], s[0:1], 0xec
	s_wait_xcnt 0x0
	s_add_nc_u64 s[0:1], s[0:1], 24
	s_delay_alu instid0(VALU_DEP_2) | instskip(NEXT) | instid1(VALU_DEP_1)
	v_add_nc_u32_e32 v6, v5, v6
	v_dual_sub_nc_u32 v7, v1, v7 :: v_dual_lshrrev_b32 v1, s43, v6
	s_wait_kmcnt 0x0
	s_delay_alu instid0(VALU_DEP_1) | instskip(NEXT) | instid1(VALU_DEP_2)
	v_mad_u32 v2, v7, s48, v2
	v_mul_lo_u32 v6, v1, s47
	v_mad_u32 v3, v7, s50, v3
	v_mad_u32 v4, v7, s49, v4
	s_delay_alu instid0(VALU_DEP_3) | instskip(NEXT) | instid1(VALU_DEP_1)
	v_sub_nc_u32_e32 v5, v5, v6
	v_mad_u32 v2, v5, s51, v2
	s_delay_alu instid0(VALU_DEP_4) | instskip(NEXT) | instid1(VALU_DEP_4)
	v_mad_u32 v3, v5, s45, v3
	v_mad_u32 v4, v5, s44, v4
	s_cbranch_scc0 .LBB11_55
; %bb.56:
	s_bitcmp1_b32 s22, 0
	s_cselect_b32 s14, -1, 0
	s_delay_alu instid0(SALU_CYCLE_1)
	s_and_b32 vcc_lo, exec_lo, s14
	s_cbranch_vccnz .LBB11_58
; %bb.57:
	s_clause 0x1
	s_load_b96 s[44:46], s[0:1], 0x1c
	s_load_b96 s[48:50], s[0:1], 0xdc
	s_wait_kmcnt 0x0
	v_mul_hi_u32 v5, s45, v1
	s_delay_alu instid0(VALU_DEP_1) | instskip(NEXT) | instid1(VALU_DEP_1)
	v_add_nc_u32_e32 v5, v1, v5
	v_lshrrev_b32_e32 v5, s46, v5
	s_delay_alu instid0(VALU_DEP_1) | instskip(NEXT) | instid1(VALU_DEP_1)
	v_mul_lo_u32 v5, v5, s44
	v_sub_nc_u32_e32 v1, v1, v5
	s_delay_alu instid0(VALU_DEP_1)
	v_mad_u32 v2, v1, s48, v2
	v_mad_u32 v4, v1, s49, v4
	;; [unrolled: 1-line block ×3, first 2 shown]
.LBB11_58:
	s_cbranch_execz .LBB11_60
	s_branch .LBB11_62
.LBB11_59:
                                        ; implicit-def: $vgpr3
                                        ; implicit-def: $vgpr4
                                        ; implicit-def: $vgpr2
.LBB11_60:
	v_mov_b32_e32 v1, 0
	s_and_not1_b32 vcc_lo, exec_lo, s20
	s_delay_alu instid0(VALU_DEP_1) | instskip(NEXT) | instid1(VALU_DEP_1)
	v_mul_u64_e32 v[2:3], s[36:37], v[0:1]
	v_add_nc_u32_e32 v2, v0, v3
	s_delay_alu instid0(VALU_DEP_1) | instskip(NEXT) | instid1(VALU_DEP_1)
	v_lshrrev_b32_e32 v6, s23, v2
	v_mul_lo_u32 v2, v6, s21
	s_delay_alu instid0(VALU_DEP_1) | instskip(NEXT) | instid1(VALU_DEP_1)
	v_sub_nc_u32_e32 v4, v0, v2
	v_mul_lo_u32 v2, v4, s24
	v_mul_lo_u32 v3, v4, s26
	;; [unrolled: 1-line block ×3, first 2 shown]
	s_cbranch_vccnz .LBB11_62
; %bb.61:
	v_mov_b32_e32 v7, v1
	s_delay_alu instid0(VALU_DEP_1) | instskip(NEXT) | instid1(VALU_DEP_1)
	v_mul_u64_e32 v[8:9], s[38:39], v[6:7]
	v_add_nc_u32_e32 v1, v6, v9
	s_delay_alu instid0(VALU_DEP_1) | instskip(NEXT) | instid1(VALU_DEP_1)
	v_lshrrev_b32_e32 v1, s30, v1
	v_mul_lo_u32 v1, v1, s28
	s_delay_alu instid0(VALU_DEP_1) | instskip(NEXT) | instid1(VALU_DEP_1)
	v_sub_nc_u32_e32 v1, v6, v1
	v_mad_u32 v2, v1, s27, v2
	v_mad_u32 v4, v1, s34, v4
	;; [unrolled: 1-line block ×3, first 2 shown]
.LBB11_62:
	global_load_b64 v[6:7], v3, s[8:9]
	v_mov_b64_e32 v[8:9], 0
	s_mov_b32 s1, exec_lo
	s_wait_loadcnt 0x0
	v_cmpx_lt_i64_e64 s[10:11], v[6:7]
	s_cbranch_execz .LBB11_68
; %bb.63:
	v_sub_nc_u64_e64 v[12:13], v[6:7], s[10:11]
                                        ; implicit-def: $vgpr8_vgpr9
	s_mov_b32 s0, exec_lo
	s_delay_alu instid0(VALU_DEP_1) | instskip(NEXT) | instid1(VALU_DEP_1)
	v_dual_mov_b32 v10, 0 :: v_dual_bitop2_b32 v11, s13, v13 bitop3:0x54
	v_cmpx_ne_u64_e32 0, v[10:11]
	s_xor_b32 s44, exec_lo, s0
	s_cbranch_execz .LBB11_65
; %bb.64:
	s_ashr_i32 s14, s13, 31
	s_mov_b32 s53, 0
	s_mov_b32 s15, s14
	v_dual_mov_b32 v17, v10 :: v_dual_ashrrev_i32 v8, 31, v13
	s_add_nc_u64 s[42:43], s[12:13], s[14:15]
	v_mov_b32_e32 v19, v10
	s_xor_b64 s[42:43], s[42:43], s[14:15]
	s_delay_alu instid0(VALU_DEP_2)
	v_mov_b32_e32 v9, v8
	s_cvt_f32_u32 s0, s42
	s_cvt_f32_u32 s15, s43
	s_sub_nc_u64 s[48:49], 0, s[42:43]
	v_mov_b32_e32 v25, v10
	v_add_nc_u64_e32 v[12:13], v[12:13], v[8:9]
	s_fmamk_f32 s0, s15, 0x4f800000, s0
	v_mov_b32_e32 v11, v10
	s_delay_alu instid0(SALU_CYCLE_2) | instskip(NEXT) | instid1(VALU_DEP_2)
	v_s_rcp_f32 s0, s0
	v_xor_b32_e32 v16, v12, v8
	s_delay_alu instid0(VALU_DEP_3) | instskip(SKIP_1) | instid1(TRANS32_DEP_1)
	v_xor_b32_e32 v18, v13, v8
	v_xor_b32_e32 v8, s14, v8
	s_mul_f32 s0, s0, 0x5f7ffffc
	s_delay_alu instid0(SALU_CYCLE_3) | instskip(NEXT) | instid1(SALU_CYCLE_3)
	s_mul_f32 s15, s0, 0x2f800000
	s_trunc_f32 s15, s15
	s_delay_alu instid0(SALU_CYCLE_3) | instskip(SKIP_1) | instid1(SALU_CYCLE_2)
	s_fmamk_f32 s0, s15, 0xcf800000, s0
	s_cvt_u32_f32 s47, s15
	s_cvt_u32_f32 s46, s0
	s_delay_alu instid0(SALU_CYCLE_3) | instskip(NEXT) | instid1(SALU_CYCLE_1)
	s_mul_u64 s[50:51], s[48:49], s[46:47]
	s_mul_hi_u32 s55, s46, s51
	s_mul_i32 s54, s46, s51
	s_mul_hi_u32 s52, s46, s50
	s_mul_i32 s15, s47, s50
	s_add_nc_u64 s[54:55], s[52:53], s[54:55]
	s_mul_hi_u32 s0, s47, s50
	s_mul_hi_u32 s45, s47, s51
	s_add_co_u32 s15, s54, s15
	s_add_co_ci_u32 s52, s55, s0
	s_mul_i32 s50, s47, s51
	s_add_co_ci_u32 s51, s45, 0
	s_delay_alu instid0(SALU_CYCLE_1) | instskip(NEXT) | instid1(SALU_CYCLE_1)
	s_add_nc_u64 s[50:51], s[52:53], s[50:51]
	s_add_co_u32 s46, s46, s50
	s_cselect_b32 s0, -1, 0
	s_delay_alu instid0(SALU_CYCLE_1) | instskip(SKIP_1) | instid1(SALU_CYCLE_1)
	s_cmp_lg_u32 s0, 0
	s_add_co_ci_u32 s47, s47, s51
	s_mul_u64 s[48:49], s[48:49], s[46:47]
	s_delay_alu instid0(SALU_CYCLE_1)
	s_mul_hi_u32 s51, s46, s49
	s_mul_i32 s50, s46, s49
	s_mul_hi_u32 s52, s46, s48
	s_mul_i32 s15, s47, s48
	s_add_nc_u64 s[50:51], s[52:53], s[50:51]
	s_mul_hi_u32 s0, s47, s48
	s_mul_hi_u32 s45, s47, s49
	s_add_co_u32 s15, s50, s15
	s_add_co_ci_u32 s52, s51, s0
	s_mul_i32 s48, s47, s49
	s_add_co_ci_u32 s49, s45, 0
	s_delay_alu instid0(SALU_CYCLE_1) | instskip(NEXT) | instid1(SALU_CYCLE_1)
	s_add_nc_u64 s[48:49], s[52:53], s[48:49]
	s_add_co_u32 s0, s46, s48
	s_cselect_b32 s15, -1, 0
	v_mul_hi_u32 v24, v16, s0
	s_cmp_lg_u32 s15, 0
	s_add_co_ci_u32 s52, s47, s49
	s_mov_b64 s[46:47], 0xffffffff
	v_mul_u64_e32 v[20:21], s[52:53], v[16:17]
	s_and_b64 s[46:47], s[0:1], s[46:47]
	v_mul_u64_e32 v[22:23], s[52:53], v[18:19]
	v_mul_u64_e32 v[12:13], s[46:47], v[18:19]
	s_delay_alu instid0(VALU_DEP_3) | instskip(NEXT) | instid1(VALU_DEP_1)
	v_add_nc_u64_e32 v[20:21], v[24:25], v[20:21]
	v_add_co_u32 v1, vcc_lo, v20, v12
	s_delay_alu instid0(VALU_DEP_2) | instskip(SKIP_1) | instid1(VALU_DEP_1)
	v_add_co_ci_u32_e32 v10, vcc_lo, v21, v13, vcc_lo
	v_add_co_ci_u32_e32 v23, vcc_lo, 0, v23, vcc_lo
	v_add_nc_u64_e32 v[10:11], v[10:11], v[22:23]
	s_delay_alu instid0(VALU_DEP_1) | instskip(NEXT) | instid1(VALU_DEP_1)
	v_mul_u64_e32 v[12:13], s[42:43], v[10:11]
	v_sub_nc_u32_e32 v1, v18, v13
	s_delay_alu instid0(VALU_DEP_2) | instskip(NEXT) | instid1(VALU_DEP_1)
	v_sub_co_u32 v3, vcc_lo, v16, v12
	v_sub_co_ci_u32_e64 v9, null, v18, v13, vcc_lo
	s_delay_alu instid0(VALU_DEP_3) | instskip(NEXT) | instid1(VALU_DEP_3)
	v_subrev_co_ci_u32_e64 v1, null, s43, v1, vcc_lo
	v_sub_co_u32 v5, s0, v3, s42
	v_add_nc_u64_e32 v[16:17], 1, v[10:11]
	s_delay_alu instid0(VALU_DEP_3) | instskip(NEXT) | instid1(VALU_DEP_3)
	v_subrev_co_ci_u32_e64 v1, null, 0, v1, s0
	v_cmp_le_u32_e32 vcc_lo, s42, v5
	v_cndmask_b32_e64 v5, 0, -1, vcc_lo
	s_delay_alu instid0(VALU_DEP_3)
	v_cmp_le_u32_e32 vcc_lo, s43, v1
	v_cndmask_b32_e64 v12, 0, -1, vcc_lo
	v_cmp_le_u32_e32 vcc_lo, s42, v3
	v_cndmask_b32_e64 v3, 0, -1, vcc_lo
	;; [unrolled: 2-line block ×3, first 2 shown]
	v_cmp_eq_u32_e32 vcc_lo, s43, v1
	v_cndmask_b32_e32 v1, v12, v5, vcc_lo
	v_cmp_eq_u32_e32 vcc_lo, s43, v9
	v_add_nc_u64_e32 v[12:13], 2, v[10:11]
	v_cndmask_b32_e32 v3, v15, v3, vcc_lo
	s_delay_alu instid0(VALU_DEP_4) | instskip(NEXT) | instid1(VALU_DEP_2)
	v_cmp_ne_u32_e32 vcc_lo, 0, v1
	v_cmp_ne_u32_e64 s0, 0, v3
	s_delay_alu instid0(VALU_DEP_4) | instskip(NEXT) | instid1(VALU_DEP_1)
	v_dual_cndmask_b32 v1, v17, v13, vcc_lo :: v_dual_cndmask_b32 v3, v16, v12, vcc_lo
                                        ; implicit-def: $vgpr12_vgpr13
	v_dual_cndmask_b32 v1, v11, v1, s0 :: v_dual_cndmask_b32 v3, v10, v3, s0
	s_delay_alu instid0(VALU_DEP_1) | instskip(NEXT) | instid1(VALU_DEP_2)
	v_dual_mov_b32 v9, v8 :: v_dual_bitop2_b32 v11, v1, v8 bitop3:0x14
	v_xor_b32_e32 v10, v3, v8
	s_delay_alu instid0(VALU_DEP_1)
	v_sub_nc_u64_e32 v[8:9], v[10:11], v[8:9]
.LBB11_65:
	s_and_not1_saveexec_b32 s0, s44
	s_cbranch_execz .LBB11_67
; %bb.66:
	v_cvt_f32_u32_e32 v1, s12
	s_sub_co_i32 s14, 0, s12
	v_mov_b32_e32 v9, 0
	s_delay_alu instid0(VALU_DEP_2) | instskip(SKIP_1) | instid1(TRANS32_DEP_1)
	v_rcp_iflag_f32_e32 v1, v1
	v_nop
	v_mul_f32_e32 v1, 0x4f7ffffe, v1
	s_delay_alu instid0(VALU_DEP_1) | instskip(NEXT) | instid1(VALU_DEP_1)
	v_cvt_u32_f32_e32 v1, v1
	v_mul_lo_u32 v3, s14, v1
	s_delay_alu instid0(VALU_DEP_1) | instskip(NEXT) | instid1(VALU_DEP_1)
	v_mul_hi_u32 v3, v1, v3
	v_add_nc_u32_e32 v1, v1, v3
	s_delay_alu instid0(VALU_DEP_1) | instskip(NEXT) | instid1(VALU_DEP_1)
	v_mul_hi_u32 v1, v12, v1
	v_mul_lo_u32 v3, v1, s12
	s_delay_alu instid0(VALU_DEP_1) | instskip(NEXT) | instid1(VALU_DEP_1)
	v_sub_nc_u32_e32 v3, v12, v3
	v_subrev_nc_u32_e32 v8, s12, v3
	v_cmp_le_u32_e32 vcc_lo, s12, v3
	s_delay_alu instid0(VALU_DEP_2) | instskip(NEXT) | instid1(VALU_DEP_1)
	v_dual_add_nc_u32 v5, 1, v1 :: v_dual_cndmask_b32 v3, v3, v8, vcc_lo
	v_cndmask_b32_e32 v1, v1, v5, vcc_lo
	s_delay_alu instid0(VALU_DEP_2) | instskip(NEXT) | instid1(VALU_DEP_2)
	v_cmp_le_u32_e32 vcc_lo, s12, v3
	v_add_nc_u32_e32 v5, 1, v1
	s_delay_alu instid0(VALU_DEP_1)
	v_cndmask_b32_e32 v8, v1, v5, vcc_lo
.LBB11_67:
	s_or_b32 exec_lo, exec_lo, s0
.LBB11_68:
	s_delay_alu instid0(SALU_CYCLE_1) | instskip(SKIP_2) | instid1(VALU_DEP_1)
	s_or_b32 exec_lo, exec_lo, s1
	v_dual_mov_b32 v10, 0 :: v_dual_bitop2_b32 v11, s13, v7 bitop3:0x54
                                        ; implicit-def: $vgpr12_vgpr13
	s_mov_b32 s0, exec_lo
	v_cmpx_ne_u64_e32 0, v[10:11]
	s_xor_b32 s1, exec_lo, s0
	s_cbranch_execz .LBB11_70
; %bb.69:
	s_ashr_i32 s14, s13, 31
	s_mov_b32 s51, 0
	s_mov_b32 s15, s14
	v_dual_mov_b32 v19, v10 :: v_dual_ashrrev_i32 v12, 31, v7
	s_add_nc_u64 s[42:43], s[12:13], s[14:15]
	v_mov_b32_e32 v21, v10
	s_xor_b64 s[42:43], s[42:43], s[14:15]
	s_delay_alu instid0(VALU_DEP_2)
	v_mov_b32_e32 v13, v12
	s_cvt_f32_u32 s0, s42
	s_cvt_f32_u32 s15, s43
	s_sub_nc_u64 s[46:47], 0, s[42:43]
	v_mov_b32_e32 v27, v10
	v_add_nc_u64_e32 v[16:17], v[6:7], v[12:13]
	s_fmamk_f32 s0, s15, 0x4f800000, s0
	v_mov_b32_e32 v11, v10
	s_delay_alu instid0(SALU_CYCLE_2) | instskip(NEXT) | instid1(VALU_DEP_2)
	v_s_rcp_f32 s0, s0
	v_xor_b32_e32 v18, v16, v12
	s_delay_alu instid0(VALU_DEP_3) | instskip(SKIP_1) | instid1(TRANS32_DEP_1)
	v_xor_b32_e32 v20, v17, v12
	v_xor_b32_e32 v12, s14, v12
	s_mul_f32 s0, s0, 0x5f7ffffc
	s_delay_alu instid0(SALU_CYCLE_3) | instskip(NEXT) | instid1(SALU_CYCLE_3)
	s_mul_f32 s15, s0, 0x2f800000
	s_trunc_f32 s15, s15
	s_delay_alu instid0(SALU_CYCLE_3) | instskip(SKIP_1) | instid1(SALU_CYCLE_2)
	s_fmamk_f32 s0, s15, 0xcf800000, s0
	s_cvt_u32_f32 s45, s15
	s_cvt_u32_f32 s44, s0
	s_delay_alu instid0(SALU_CYCLE_3) | instskip(NEXT) | instid1(SALU_CYCLE_1)
	s_mul_u64 s[48:49], s[46:47], s[44:45]
	s_mul_hi_u32 s53, s44, s49
	s_mul_i32 s52, s44, s49
	s_mul_hi_u32 s50, s44, s48
	s_mul_i32 s15, s45, s48
	s_add_nc_u64 s[52:53], s[50:51], s[52:53]
	s_mul_hi_u32 s0, s45, s48
	s_mul_hi_u32 s54, s45, s49
	s_add_co_u32 s15, s52, s15
	s_add_co_ci_u32 s50, s53, s0
	s_mul_i32 s48, s45, s49
	s_add_co_ci_u32 s49, s54, 0
	s_delay_alu instid0(SALU_CYCLE_1) | instskip(NEXT) | instid1(SALU_CYCLE_1)
	s_add_nc_u64 s[48:49], s[50:51], s[48:49]
	s_add_co_u32 s44, s44, s48
	s_cselect_b32 s0, -1, 0
	s_delay_alu instid0(SALU_CYCLE_1) | instskip(SKIP_1) | instid1(SALU_CYCLE_1)
	s_cmp_lg_u32 s0, 0
	s_add_co_ci_u32 s45, s45, s49
	s_mul_u64 s[46:47], s[46:47], s[44:45]
	s_delay_alu instid0(SALU_CYCLE_1)
	s_mul_hi_u32 s49, s44, s47
	s_mul_i32 s48, s44, s47
	s_mul_hi_u32 s50, s44, s46
	s_mul_i32 s15, s45, s46
	s_add_nc_u64 s[48:49], s[50:51], s[48:49]
	s_mul_hi_u32 s0, s45, s46
	s_mul_hi_u32 s52, s45, s47
	s_add_co_u32 s15, s48, s15
	s_add_co_ci_u32 s50, s49, s0
	s_mul_i32 s46, s45, s47
	s_add_co_ci_u32 s47, s52, 0
	s_delay_alu instid0(SALU_CYCLE_1) | instskip(NEXT) | instid1(SALU_CYCLE_1)
	s_add_nc_u64 s[46:47], s[50:51], s[46:47]
	s_add_co_u32 s0, s44, s46
	s_cselect_b32 s15, -1, 0
	v_mul_hi_u32 v26, v18, s0
	s_cmp_lg_u32 s15, 0
	s_add_co_ci_u32 s50, s45, s47
	s_mov_b64 s[44:45], 0xffffffff
	v_mul_u64_e32 v[22:23], s[50:51], v[18:19]
	s_and_b64 s[44:45], s[0:1], s[44:45]
	v_mul_u64_e32 v[24:25], s[50:51], v[20:21]
	v_mul_u64_e32 v[16:17], s[44:45], v[20:21]
	s_delay_alu instid0(VALU_DEP_3) | instskip(NEXT) | instid1(VALU_DEP_1)
	v_add_nc_u64_e32 v[22:23], v[26:27], v[22:23]
	v_add_co_u32 v1, vcc_lo, v22, v16
	s_delay_alu instid0(VALU_DEP_2) | instskip(SKIP_1) | instid1(VALU_DEP_1)
	v_add_co_ci_u32_e32 v10, vcc_lo, v23, v17, vcc_lo
	v_add_co_ci_u32_e32 v25, vcc_lo, 0, v25, vcc_lo
	v_add_nc_u64_e32 v[10:11], v[10:11], v[24:25]
	s_delay_alu instid0(VALU_DEP_1) | instskip(NEXT) | instid1(VALU_DEP_1)
	v_mul_u64_e32 v[16:17], s[42:43], v[10:11]
	v_sub_nc_u32_e32 v1, v20, v17
	s_delay_alu instid0(VALU_DEP_2) | instskip(NEXT) | instid1(VALU_DEP_1)
	v_sub_co_u32 v3, vcc_lo, v18, v16
	v_sub_co_ci_u32_e64 v13, null, v20, v17, vcc_lo
	s_delay_alu instid0(VALU_DEP_3) | instskip(NEXT) | instid1(VALU_DEP_3)
	v_subrev_co_ci_u32_e64 v1, null, s43, v1, vcc_lo
	v_sub_co_u32 v5, s0, v3, s42
	v_add_nc_u64_e32 v[16:17], 2, v[10:11]
	s_delay_alu instid0(VALU_DEP_3) | instskip(NEXT) | instid1(VALU_DEP_3)
	v_subrev_co_ci_u32_e64 v1, null, 0, v1, s0
	v_cmp_le_u32_e32 vcc_lo, s42, v5
	v_add_nc_u64_e32 v[18:19], 1, v[10:11]
	v_cndmask_b32_e64 v5, 0, -1, vcc_lo
	s_delay_alu instid0(VALU_DEP_4)
	v_cmp_le_u32_e32 vcc_lo, s43, v1
	v_cndmask_b32_e64 v15, 0, -1, vcc_lo
	v_cmp_le_u32_e32 vcc_lo, s42, v3
	v_cndmask_b32_e64 v3, 0, -1, vcc_lo
	;; [unrolled: 2-line block ×3, first 2 shown]
	v_cmp_eq_u32_e32 vcc_lo, s43, v1
	v_cndmask_b32_e32 v1, v15, v5, vcc_lo
	v_cmp_eq_u32_e32 vcc_lo, s43, v13
	s_delay_alu instid0(VALU_DEP_4) | instskip(NEXT) | instid1(VALU_DEP_3)
	v_cndmask_b32_e32 v3, v20, v3, vcc_lo
	v_cmp_ne_u32_e32 vcc_lo, 0, v1
	s_delay_alu instid0(VALU_DEP_2) | instskip(SKIP_1) | instid1(VALU_DEP_1)
	v_cmp_ne_u32_e64 s0, 0, v3
	v_dual_cndmask_b32 v1, v19, v17, vcc_lo :: v_dual_cndmask_b32 v3, v18, v16, vcc_lo
	v_dual_cndmask_b32 v1, v11, v1, s0 :: v_dual_cndmask_b32 v3, v10, v3, s0
	s_delay_alu instid0(VALU_DEP_1) | instskip(NEXT) | instid1(VALU_DEP_2)
	v_dual_mov_b32 v13, v12 :: v_dual_bitop2_b32 v11, v1, v12 bitop3:0x14
	v_xor_b32_e32 v10, v3, v12
	s_delay_alu instid0(VALU_DEP_1)
	v_sub_nc_u64_e32 v[12:13], v[10:11], v[12:13]
.LBB11_70:
	s_and_not1_saveexec_b32 s0, s1
	s_cbranch_execz .LBB11_72
; %bb.71:
	v_cvt_f32_u32_e32 v1, s12
	s_sub_co_i32 s1, 0, s12
	v_mov_b32_e32 v13, 0
	s_delay_alu instid0(VALU_DEP_2) | instskip(SKIP_1) | instid1(TRANS32_DEP_1)
	v_rcp_iflag_f32_e32 v1, v1
	v_nop
	v_mul_f32_e32 v1, 0x4f7ffffe, v1
	s_delay_alu instid0(VALU_DEP_1) | instskip(NEXT) | instid1(VALU_DEP_1)
	v_cvt_u32_f32_e32 v1, v1
	v_mul_lo_u32 v3, s1, v1
	s_delay_alu instid0(VALU_DEP_1) | instskip(NEXT) | instid1(VALU_DEP_1)
	v_mul_hi_u32 v3, v1, v3
	v_add_nc_u32_e32 v1, v1, v3
	s_delay_alu instid0(VALU_DEP_1) | instskip(NEXT) | instid1(VALU_DEP_1)
	v_mul_hi_u32 v1, v6, v1
	v_mul_lo_u32 v3, v1, s12
	s_delay_alu instid0(VALU_DEP_1) | instskip(NEXT) | instid1(VALU_DEP_1)
	v_sub_nc_u32_e32 v3, v6, v3
	v_subrev_nc_u32_e32 v10, s12, v3
	v_cmp_le_u32_e32 vcc_lo, s12, v3
	s_delay_alu instid0(VALU_DEP_2) | instskip(NEXT) | instid1(VALU_DEP_1)
	v_dual_add_nc_u32 v5, 1, v1 :: v_dual_cndmask_b32 v3, v3, v10, vcc_lo
	v_cndmask_b32_e32 v1, v1, v5, vcc_lo
	s_delay_alu instid0(VALU_DEP_2) | instskip(NEXT) | instid1(VALU_DEP_2)
	v_cmp_le_u32_e32 vcc_lo, s12, v3
	v_add_nc_u32_e32 v5, 1, v1
	s_delay_alu instid0(VALU_DEP_1)
	v_cndmask_b32_e32 v12, v1, v5, vcc_lo
.LBB11_72:
	s_or_b32 exec_lo, exec_lo, s0
	v_mul_u64_e32 v[16:17], s[12:13], v[8:9]
	s_delay_alu instid0(VALU_DEP_2) | instskip(SKIP_2) | instid1(VALU_DEP_2)
	v_min_i64 v[10:11], v[12:13], s[2:3]
	s_mov_b32 s1, 0
	s_mov_b32 s42, exec_lo
	v_add_nc_u64_e32 v[12:13], s[10:11], v[16:17]
	v_cmp_gt_i64_e32 vcc_lo, v[16:17], v[6:7]
	s_delay_alu instid0(VALU_DEP_2) | instskip(SKIP_2) | instid1(SALU_CYCLE_1)
	v_cmp_ge_i64_e64 s0, v[6:7], v[12:13]
	v_mov_b32_e32 v13, s1
	s_or_b32 s0, vcc_lo, s0
	v_cndmask_b32_e64 v12, 0, 1, s0
	s_delay_alu instid0(VALU_DEP_1) | instskip(NEXT) | instid1(VALU_DEP_1)
	v_add_nc_u64_e32 v[8:9], v[8:9], v[12:13]
	v_cmpx_le_i64_e64 v[8:9], v[10:11]
	s_cbranch_execz .LBB11_75
; %bb.73:
	global_load_u16 v1, v2, s[4:5]
	v_mul_u64_e32 v[12:13], s[12:13], v[8:9]
	v_mov_b32_e32 v3, 0
	s_mul_u64 s[14:15], s[12:13], s[18:19]
	s_lshl_b64 s[44:45], s[16:17], 1
	s_lshl_b64 s[14:15], s[14:15], 1
	s_delay_alu instid0(VALU_DEP_1) | instskip(SKIP_3) | instid1(VALU_DEP_4)
	v_mov_b32_e32 v5, v3
	s_wait_xcnt 0x0
	v_add_nc_u64_e32 v[2:3], s[4:5], v[2:3]
	s_sub_nc_u64 s[14:15], s[44:45], s[14:15]
	v_sub_nc_u64_e32 v[6:7], v[6:7], v[12:13]
	v_mul_u64_e32 v[12:13], s[16:17], v[8:9]
	s_delay_alu instid0(VALU_DEP_2) | instskip(NEXT) | instid1(VALU_DEP_2)
	v_mul_u64_e32 v[6:7], s[18:19], v[6:7]
	v_lshlrev_b64_e32 v[12:13], 1, v[12:13]
	s_delay_alu instid0(VALU_DEP_1) | instskip(NEXT) | instid1(VALU_DEP_1)
	v_lshl_add_u64 v[6:7], v[6:7], 1, v[12:13]
	v_add_nc_u64_e32 v[6:7], v[6:7], v[4:5]
	v_add_nc_u64_e32 v[4:5], -1, v[8:9]
	s_delay_alu instid0(VALU_DEP_2)
	v_add_nc_u64_e32 v[6:7], s[6:7], v[6:7]
.LBB11_74:                              ; =>This Inner Loop Header: Depth=1
	global_load_u16 v8, v[6:7], off
	s_wait_loadcnt 0x1
	v_lshlrev_b32_e32 v1, 16, v1
	v_add_nc_u64_e32 v[4:5], 1, v[4:5]
	s_wait_xcnt 0x0
	v_add_nc_u64_e32 v[6:7], s[14:15], v[6:7]
	s_delay_alu instid0(VALU_DEP_2) | instskip(SKIP_3) | instid1(VALU_DEP_1)
	v_cmp_ge_i64_e32 vcc_lo, v[4:5], v[10:11]
	s_or_b32 s1, vcc_lo, s1
	s_wait_loadcnt 0x0
	v_lshlrev_b32_e32 v8, 16, v8
	v_add_f32_e32 v1, v8, v1
	s_delay_alu instid0(VALU_DEP_1) | instskip(NEXT) | instid1(VALU_DEP_1)
	v_bfe_u32 v8, v1, 16, 1
	v_add3_u32 v8, v1, v8, 0x7fff
	s_delay_alu instid0(VALU_DEP_1) | instskip(SKIP_1) | instid1(VALU_DEP_1)
	v_lshrrev_b32_e32 v8, 16, v8
	v_cmp_o_f32_e64 s0, v1, v1
	v_cndmask_b32_e64 v1, 0x7fc0, v8, s0
	global_store_b16 v[2:3], v1, off
	s_wait_xcnt 0x0
	s_and_not1_b32 exec_lo, exec_lo, s1
	s_cbranch_execnz .LBB11_74
.LBB11_75:
	s_or_b32 exec_lo, exec_lo, s42
	v_add_nc_u32_e32 v0, 0x100, v0
	s_or_b32 exec_lo, exec_lo, s29
	s_delay_alu instid0(SALU_CYCLE_1) | instskip(NEXT) | instid1(VALU_DEP_1)
	s_mov_b32 s0, exec_lo
	v_cmpx_gt_i32_e64 s31, v0
	s_cbranch_execz .LBB11_99
.LBB11_76:
	v_cmp_ne_u32_e32 vcc_lo, 1, v14
	s_cbranch_vccnz .LBB11_83
; %bb.77:
	v_dual_mov_b32 v3, 0 :: v_dual_mov_b32 v4, 0
	v_mov_b32_e32 v2, 0
	s_and_not1_b32 vcc_lo, exec_lo, s33
	s_cbranch_vccnz .LBB11_82
; %bb.78:
	v_dual_mov_b32 v2, 0 :: v_dual_mov_b32 v1, v0
	v_dual_mov_b32 v4, 0 :: v_dual_mov_b32 v3, 0
	s_add_co_i32 s14, s22, 1
	s_mov_b64 s[0:1], 0xffffffffffffffe8
	s_and_b32 s14, s14, 30
	s_add_nc_u64 s[0:1], s[40:41], s[0:1]
.LBB11_79:                              ; =>This Inner Loop Header: Depth=1
	s_clause 0x1
	s_load_b128 s[40:43], s[0:1], 0x1c
	s_load_b64 s[48:49], s[0:1], 0x2c
	s_add_co_i32 s14, s14, -2
	s_delay_alu instid0(SALU_CYCLE_1) | instskip(SKIP_2) | instid1(VALU_DEP_1)
	s_cmp_eq_u32 s14, 0
	s_wait_kmcnt 0x0
	v_mul_hi_u32 v5, s41, v1
	v_add_nc_u32_e32 v5, v1, v5
	s_delay_alu instid0(VALU_DEP_1) | instskip(NEXT) | instid1(VALU_DEP_1)
	v_lshrrev_b32_e32 v5, s42, v5
	v_mul_hi_u32 v6, s48, v5
	v_mul_lo_u32 v7, v5, s40
	s_clause 0x1
	s_load_b128 s[44:47], s[0:1], 0xdc
	s_load_b64 s[40:41], s[0:1], 0xec
	s_wait_xcnt 0x0
	s_add_nc_u64 s[0:1], s[0:1], 24
	s_delay_alu instid0(VALU_DEP_2) | instskip(NEXT) | instid1(VALU_DEP_1)
	v_add_nc_u32_e32 v6, v5, v6
	v_dual_sub_nc_u32 v7, v1, v7 :: v_dual_lshrrev_b32 v1, s49, v6
	s_wait_kmcnt 0x0
	s_delay_alu instid0(VALU_DEP_1) | instskip(NEXT) | instid1(VALU_DEP_2)
	v_mad_u32 v2, v7, s44, v2
	v_mul_lo_u32 v6, v1, s43
	v_mad_u32 v3, v7, s46, v3
	v_mad_u32 v4, v7, s45, v4
	s_delay_alu instid0(VALU_DEP_3) | instskip(NEXT) | instid1(VALU_DEP_1)
	v_sub_nc_u32_e32 v5, v5, v6
	v_mad_u32 v2, v5, s47, v2
	s_delay_alu instid0(VALU_DEP_4) | instskip(NEXT) | instid1(VALU_DEP_4)
	v_mad_u32 v3, v5, s41, v3
	v_mad_u32 v4, v5, s40, v4
	s_cbranch_scc0 .LBB11_79
; %bb.80:
	s_bitcmp1_b32 s22, 0
	s_cselect_b32 s14, -1, 0
	s_delay_alu instid0(SALU_CYCLE_1)
	s_and_b32 vcc_lo, exec_lo, s14
	s_cbranch_vccnz .LBB11_82
; %bb.81:
	s_clause 0x1
	s_load_b96 s[40:42], s[0:1], 0x1c
	s_load_b96 s[44:46], s[0:1], 0xdc
	s_wait_kmcnt 0x0
	v_mul_hi_u32 v5, s41, v1
	s_delay_alu instid0(VALU_DEP_1) | instskip(NEXT) | instid1(VALU_DEP_1)
	v_add_nc_u32_e32 v5, v1, v5
	v_lshrrev_b32_e32 v5, s42, v5
	s_delay_alu instid0(VALU_DEP_1) | instskip(NEXT) | instid1(VALU_DEP_1)
	v_mul_lo_u32 v5, v5, s40
	v_sub_nc_u32_e32 v1, v1, v5
	s_delay_alu instid0(VALU_DEP_1)
	v_mad_u32 v2, v1, s44, v2
	v_mad_u32 v4, v1, s45, v4
	;; [unrolled: 1-line block ×3, first 2 shown]
.LBB11_82:
	s_cbranch_execz .LBB11_84
	s_branch .LBB11_86
.LBB11_83:
                                        ; implicit-def: $vgpr3
                                        ; implicit-def: $vgpr4
                                        ; implicit-def: $vgpr2
.LBB11_84:
	v_mov_b32_e32 v1, 0
	s_and_not1_b32 vcc_lo, exec_lo, s20
	s_delay_alu instid0(VALU_DEP_1) | instskip(NEXT) | instid1(VALU_DEP_1)
	v_mul_u64_e32 v[2:3], s[36:37], v[0:1]
	v_add_nc_u32_e32 v2, v0, v3
	s_delay_alu instid0(VALU_DEP_1) | instskip(NEXT) | instid1(VALU_DEP_1)
	v_lshrrev_b32_e32 v6, s23, v2
	v_mul_lo_u32 v2, v6, s21
	s_delay_alu instid0(VALU_DEP_1) | instskip(NEXT) | instid1(VALU_DEP_1)
	v_sub_nc_u32_e32 v0, v0, v2
	v_mul_lo_u32 v2, v0, s24
	v_mul_lo_u32 v3, v0, s26
	;; [unrolled: 1-line block ×3, first 2 shown]
	s_cbranch_vccnz .LBB11_86
; %bb.85:
	v_mov_b32_e32 v7, v1
	s_delay_alu instid0(VALU_DEP_1) | instskip(NEXT) | instid1(VALU_DEP_1)
	v_mul_u64_e32 v[0:1], s[38:39], v[6:7]
	v_add_nc_u32_e32 v0, v6, v1
	s_delay_alu instid0(VALU_DEP_1) | instskip(NEXT) | instid1(VALU_DEP_1)
	v_lshrrev_b32_e32 v0, s30, v0
	v_mul_lo_u32 v0, v0, s28
	s_delay_alu instid0(VALU_DEP_1) | instskip(NEXT) | instid1(VALU_DEP_1)
	v_sub_nc_u32_e32 v0, v6, v0
	v_mad_u32 v2, v0, s27, v2
	v_mad_u32 v4, v0, s34, v4
	;; [unrolled: 1-line block ×3, first 2 shown]
.LBB11_86:
	global_load_b64 v[0:1], v3, s[8:9]
	v_mov_b64_e32 v[6:7], 0
	s_mov_b32 s1, exec_lo
	s_wait_loadcnt 0x0
	v_cmpx_lt_i64_e64 s[10:11], v[0:1]
	s_cbranch_execz .LBB11_92
; %bb.87:
	v_sub_nc_u64_e64 v[10:11], v[0:1], s[10:11]
                                        ; implicit-def: $vgpr6_vgpr7
	s_mov_b32 s0, exec_lo
	s_delay_alu instid0(VALU_DEP_1) | instskip(NEXT) | instid1(VALU_DEP_1)
	v_dual_mov_b32 v8, 0 :: v_dual_bitop2_b32 v9, s13, v11 bitop3:0x54
	v_cmpx_ne_u64_e32 0, v[8:9]
	s_xor_b32 s20, exec_lo, s0
	s_cbranch_execz .LBB11_89
; %bb.88:
	s_ashr_i32 s8, s13, 31
	s_mov_b32 s29, 0
	s_mov_b32 s9, s8
	v_dual_mov_b32 v13, v8 :: v_dual_ashrrev_i32 v6, 31, v11
	s_add_nc_u64 s[14:15], s[12:13], s[8:9]
	v_mov_b32_e32 v15, v8
	s_xor_b64 s[14:15], s[14:15], s[8:9]
	s_delay_alu instid0(VALU_DEP_2)
	v_mov_b32_e32 v7, v6
	s_cvt_f32_u32 s0, s14
	s_cvt_f32_u32 s9, s15
	s_sub_nc_u64 s[24:25], 0, s[14:15]
	v_mov_b32_e32 v21, v8
	v_add_nc_u64_e32 v[10:11], v[10:11], v[6:7]
	s_fmamk_f32 s0, s9, 0x4f800000, s0
	v_mov_b32_e32 v9, v8
	s_delay_alu instid0(SALU_CYCLE_2) | instskip(NEXT) | instid1(VALU_DEP_2)
	v_s_rcp_f32 s0, s0
	v_xor_b32_e32 v12, v10, v6
	s_delay_alu instid0(VALU_DEP_3) | instskip(SKIP_1) | instid1(TRANS32_DEP_1)
	v_xor_b32_e32 v14, v11, v6
	v_xor_b32_e32 v6, s8, v6
	s_mul_f32 s0, s0, 0x5f7ffffc
	s_delay_alu instid0(SALU_CYCLE_3) | instskip(NEXT) | instid1(SALU_CYCLE_3)
	s_mul_f32 s9, s0, 0x2f800000
	s_trunc_f32 s9, s9
	s_delay_alu instid0(SALU_CYCLE_3) | instskip(SKIP_1) | instid1(SALU_CYCLE_2)
	s_fmamk_f32 s0, s9, 0xcf800000, s0
	s_cvt_u32_f32 s23, s9
	s_cvt_u32_f32 s22, s0
	s_delay_alu instid0(SALU_CYCLE_3) | instskip(NEXT) | instid1(SALU_CYCLE_1)
	s_mul_u64 s[26:27], s[24:25], s[22:23]
	s_mul_hi_u32 s31, s22, s27
	s_mul_i32 s30, s22, s27
	s_mul_hi_u32 s28, s22, s26
	s_mul_i32 s9, s23, s26
	s_add_nc_u64 s[30:31], s[28:29], s[30:31]
	s_mul_hi_u32 s0, s23, s26
	s_mul_hi_u32 s21, s23, s27
	s_add_co_u32 s9, s30, s9
	s_add_co_ci_u32 s28, s31, s0
	s_mul_i32 s26, s23, s27
	s_add_co_ci_u32 s27, s21, 0
	s_delay_alu instid0(SALU_CYCLE_1) | instskip(NEXT) | instid1(SALU_CYCLE_1)
	s_add_nc_u64 s[26:27], s[28:29], s[26:27]
	s_add_co_u32 s22, s22, s26
	s_cselect_b32 s0, -1, 0
	s_delay_alu instid0(SALU_CYCLE_1) | instskip(SKIP_1) | instid1(SALU_CYCLE_1)
	s_cmp_lg_u32 s0, 0
	s_add_co_ci_u32 s23, s23, s27
	s_mul_u64 s[24:25], s[24:25], s[22:23]
	s_delay_alu instid0(SALU_CYCLE_1)
	s_mul_hi_u32 s27, s22, s25
	s_mul_i32 s26, s22, s25
	s_mul_hi_u32 s28, s22, s24
	s_mul_i32 s9, s23, s24
	s_add_nc_u64 s[26:27], s[28:29], s[26:27]
	s_mul_hi_u32 s0, s23, s24
	s_mul_hi_u32 s21, s23, s25
	s_add_co_u32 s9, s26, s9
	s_add_co_ci_u32 s28, s27, s0
	s_mul_i32 s24, s23, s25
	s_add_co_ci_u32 s25, s21, 0
	s_delay_alu instid0(SALU_CYCLE_1) | instskip(NEXT) | instid1(SALU_CYCLE_1)
	s_add_nc_u64 s[24:25], s[28:29], s[24:25]
	s_add_co_u32 s0, s22, s24
	s_cselect_b32 s9, -1, 0
	v_mul_hi_u32 v20, v12, s0
	s_cmp_lg_u32 s9, 0
	s_add_co_ci_u32 s28, s23, s25
	s_mov_b64 s[22:23], 0xffffffff
	v_mul_u64_e32 v[16:17], s[28:29], v[12:13]
	s_and_b64 s[22:23], s[0:1], s[22:23]
	v_mul_u64_e32 v[18:19], s[28:29], v[14:15]
	v_mul_u64_e32 v[10:11], s[22:23], v[14:15]
	s_delay_alu instid0(VALU_DEP_3) | instskip(NEXT) | instid1(VALU_DEP_1)
	v_add_nc_u64_e32 v[16:17], v[20:21], v[16:17]
	v_add_co_u32 v3, vcc_lo, v16, v10
	s_delay_alu instid0(VALU_DEP_2) | instskip(SKIP_1) | instid1(VALU_DEP_1)
	v_add_co_ci_u32_e32 v8, vcc_lo, v17, v11, vcc_lo
	v_add_co_ci_u32_e32 v19, vcc_lo, 0, v19, vcc_lo
	v_add_nc_u64_e32 v[8:9], v[8:9], v[18:19]
	s_delay_alu instid0(VALU_DEP_1) | instskip(NEXT) | instid1(VALU_DEP_1)
	v_mul_u64_e32 v[10:11], s[14:15], v[8:9]
	v_sub_nc_u32_e32 v3, v14, v11
	s_delay_alu instid0(VALU_DEP_2) | instskip(NEXT) | instid1(VALU_DEP_1)
	v_sub_co_u32 v5, vcc_lo, v12, v10
	v_sub_co_ci_u32_e64 v14, null, v14, v11, vcc_lo
	s_delay_alu instid0(VALU_DEP_3) | instskip(NEXT) | instid1(VALU_DEP_3)
	v_subrev_co_ci_u32_e64 v3, null, s15, v3, vcc_lo
	v_sub_co_u32 v7, s0, v5, s14
	v_add_nc_u64_e32 v[12:13], 1, v[8:9]
	s_delay_alu instid0(VALU_DEP_3) | instskip(NEXT) | instid1(VALU_DEP_3)
	v_subrev_co_ci_u32_e64 v3, null, 0, v3, s0
	v_cmp_le_u32_e32 vcc_lo, s14, v7
	v_cndmask_b32_e64 v7, 0, -1, vcc_lo
	s_delay_alu instid0(VALU_DEP_3)
	v_cmp_le_u32_e32 vcc_lo, s15, v3
	v_cndmask_b32_e64 v10, 0, -1, vcc_lo
	v_cmp_le_u32_e32 vcc_lo, s14, v5
	v_cndmask_b32_e64 v5, 0, -1, vcc_lo
	;; [unrolled: 2-line block ×3, first 2 shown]
	v_cmp_eq_u32_e32 vcc_lo, s15, v3
	v_cndmask_b32_e32 v3, v10, v7, vcc_lo
	v_cmp_eq_u32_e32 vcc_lo, s15, v14
	v_add_nc_u64_e32 v[10:11], 2, v[8:9]
	v_cndmask_b32_e32 v5, v15, v5, vcc_lo
	s_delay_alu instid0(VALU_DEP_4) | instskip(NEXT) | instid1(VALU_DEP_2)
	v_cmp_ne_u32_e32 vcc_lo, 0, v3
	v_cmp_ne_u32_e64 s0, 0, v5
	s_delay_alu instid0(VALU_DEP_4) | instskip(NEXT) | instid1(VALU_DEP_1)
	v_dual_cndmask_b32 v3, v13, v11, vcc_lo :: v_dual_cndmask_b32 v5, v12, v10, vcc_lo
                                        ; implicit-def: $vgpr10_vgpr11
	v_dual_cndmask_b32 v3, v9, v3, s0 :: v_dual_cndmask_b32 v5, v8, v5, s0
	s_delay_alu instid0(VALU_DEP_1) | instskip(NEXT) | instid1(VALU_DEP_2)
	v_dual_mov_b32 v7, v6 :: v_dual_bitop2_b32 v9, v3, v6 bitop3:0x14
	v_xor_b32_e32 v8, v5, v6
	s_delay_alu instid0(VALU_DEP_1)
	v_sub_nc_u64_e32 v[6:7], v[8:9], v[6:7]
.LBB11_89:
	s_and_not1_saveexec_b32 s0, s20
	s_cbranch_execz .LBB11_91
; %bb.90:
	v_cvt_f32_u32_e32 v3, s12
	s_sub_co_i32 s8, 0, s12
	s_delay_alu instid0(VALU_DEP_1) | instskip(SKIP_1) | instid1(TRANS32_DEP_1)
	v_rcp_iflag_f32_e32 v3, v3
	v_nop
	v_mul_f32_e32 v3, 0x4f7ffffe, v3
	s_delay_alu instid0(VALU_DEP_1) | instskip(NEXT) | instid1(VALU_DEP_1)
	v_cvt_u32_f32_e32 v3, v3
	v_mul_lo_u32 v5, s8, v3
	s_delay_alu instid0(VALU_DEP_1) | instskip(NEXT) | instid1(VALU_DEP_1)
	v_mul_hi_u32 v5, v3, v5
	v_add_nc_u32_e32 v3, v3, v5
	s_delay_alu instid0(VALU_DEP_1) | instskip(NEXT) | instid1(VALU_DEP_1)
	v_mul_hi_u32 v3, v10, v3
	v_mul_lo_u32 v5, v3, s12
	s_delay_alu instid0(VALU_DEP_1) | instskip(NEXT) | instid1(VALU_DEP_1)
	v_dual_add_nc_u32 v6, 1, v3 :: v_dual_sub_nc_u32 v5, v10, v5
	v_subrev_nc_u32_e32 v7, s12, v5
	v_cmp_le_u32_e32 vcc_lo, s12, v5
	s_delay_alu instid0(VALU_DEP_2) | instskip(NEXT) | instid1(VALU_DEP_4)
	v_dual_cndmask_b32 v5, v5, v7, vcc_lo :: v_dual_mov_b32 v7, 0
	v_cndmask_b32_e32 v3, v3, v6, vcc_lo
	s_delay_alu instid0(VALU_DEP_2) | instskip(NEXT) | instid1(VALU_DEP_2)
	v_cmp_le_u32_e32 vcc_lo, s12, v5
	v_add_nc_u32_e32 v6, 1, v3
	s_delay_alu instid0(VALU_DEP_1)
	v_cndmask_b32_e32 v6, v3, v6, vcc_lo
.LBB11_91:
	s_or_b32 exec_lo, exec_lo, s0
.LBB11_92:
	s_delay_alu instid0(SALU_CYCLE_1) | instskip(SKIP_2) | instid1(VALU_DEP_1)
	s_or_b32 exec_lo, exec_lo, s1
	v_dual_mov_b32 v8, 0 :: v_dual_bitop2_b32 v9, s13, v1 bitop3:0x54
                                        ; implicit-def: $vgpr10_vgpr11
	s_mov_b32 s0, exec_lo
	v_cmpx_ne_u64_e32 0, v[8:9]
	s_xor_b32 s1, exec_lo, s0
	s_cbranch_execz .LBB11_94
; %bb.93:
	s_ashr_i32 s8, s13, 31
	s_mov_b32 s27, 0
	s_mov_b32 s9, s8
	v_dual_mov_b32 v15, v8 :: v_dual_ashrrev_i32 v10, 31, v1
	s_add_nc_u64 s[14:15], s[12:13], s[8:9]
	v_dual_mov_b32 v23, v8 :: v_dual_mov_b32 v9, v8
	s_xor_b64 s[14:15], s[14:15], s[8:9]
	s_delay_alu instid0(VALU_DEP_2) | instskip(SKIP_3) | instid1(VALU_DEP_1)
	v_mov_b32_e32 v11, v10
	s_cvt_f32_u32 s0, s14
	s_cvt_f32_u32 s9, s15
	s_sub_nc_u64 s[22:23], 0, s[14:15]
	v_add_nc_u64_e32 v[12:13], v[0:1], v[10:11]
	s_delay_alu instid0(SALU_CYCLE_1) | instskip(SKIP_1) | instid1(SALU_CYCLE_2)
	s_fmamk_f32 s0, s9, 0x4f800000, s0
	v_mov_b32_e32 v17, v8
	v_s_rcp_f32 s0, s0
	s_delay_alu instid0(VALU_DEP_2) | instskip(NEXT) | instid1(VALU_DEP_3)
	v_xor_b32_e32 v14, v12, v10
	v_xor_b32_e32 v16, v13, v10
	;; [unrolled: 1-line block ×3, first 2 shown]
	s_delay_alu instid0(TRANS32_DEP_1) | instskip(NEXT) | instid1(SALU_CYCLE_3)
	s_mul_f32 s0, s0, 0x5f7ffffc
	s_mul_f32 s9, s0, 0x2f800000
	s_delay_alu instid0(SALU_CYCLE_3) | instskip(NEXT) | instid1(SALU_CYCLE_3)
	s_trunc_f32 s9, s9
	s_fmamk_f32 s0, s9, 0xcf800000, s0
	s_cvt_u32_f32 s21, s9
	s_delay_alu instid0(SALU_CYCLE_2) | instskip(NEXT) | instid1(SALU_CYCLE_3)
	s_cvt_u32_f32 s20, s0
	s_mul_u64 s[24:25], s[22:23], s[20:21]
	s_delay_alu instid0(SALU_CYCLE_1)
	s_mul_hi_u32 s29, s20, s25
	s_mul_i32 s28, s20, s25
	s_mul_hi_u32 s26, s20, s24
	s_mul_i32 s9, s21, s24
	s_add_nc_u64 s[28:29], s[26:27], s[28:29]
	s_mul_hi_u32 s0, s21, s24
	s_mul_hi_u32 s30, s21, s25
	s_add_co_u32 s9, s28, s9
	s_add_co_ci_u32 s26, s29, s0
	s_mul_i32 s24, s21, s25
	s_add_co_ci_u32 s25, s30, 0
	s_delay_alu instid0(SALU_CYCLE_1) | instskip(NEXT) | instid1(SALU_CYCLE_1)
	s_add_nc_u64 s[24:25], s[26:27], s[24:25]
	s_add_co_u32 s20, s20, s24
	s_cselect_b32 s0, -1, 0
	s_delay_alu instid0(SALU_CYCLE_1) | instskip(SKIP_1) | instid1(SALU_CYCLE_1)
	s_cmp_lg_u32 s0, 0
	s_add_co_ci_u32 s21, s21, s25
	s_mul_u64 s[22:23], s[22:23], s[20:21]
	s_delay_alu instid0(SALU_CYCLE_1)
	s_mul_hi_u32 s25, s20, s23
	s_mul_i32 s24, s20, s23
	s_mul_hi_u32 s26, s20, s22
	s_mul_i32 s9, s21, s22
	s_add_nc_u64 s[24:25], s[26:27], s[24:25]
	s_mul_hi_u32 s0, s21, s22
	s_mul_hi_u32 s28, s21, s23
	s_add_co_u32 s9, s24, s9
	s_add_co_ci_u32 s26, s25, s0
	s_mul_i32 s22, s21, s23
	s_add_co_ci_u32 s23, s28, 0
	s_delay_alu instid0(SALU_CYCLE_1) | instskip(NEXT) | instid1(SALU_CYCLE_1)
	s_add_nc_u64 s[22:23], s[26:27], s[22:23]
	s_add_co_u32 s0, s20, s22
	s_cselect_b32 s9, -1, 0
	v_mul_hi_u32 v22, v14, s0
	s_cmp_lg_u32 s9, 0
	s_add_co_ci_u32 s26, s21, s23
	s_mov_b64 s[20:21], 0xffffffff
	v_mul_u64_e32 v[18:19], s[26:27], v[14:15]
	s_and_b64 s[20:21], s[0:1], s[20:21]
	v_mul_u64_e32 v[20:21], s[26:27], v[16:17]
	v_mul_u64_e32 v[12:13], s[20:21], v[16:17]
	s_delay_alu instid0(VALU_DEP_3) | instskip(NEXT) | instid1(VALU_DEP_1)
	v_add_nc_u64_e32 v[18:19], v[22:23], v[18:19]
	v_add_co_u32 v3, vcc_lo, v18, v12
	s_delay_alu instid0(VALU_DEP_2) | instskip(SKIP_1) | instid1(VALU_DEP_1)
	v_add_co_ci_u32_e32 v8, vcc_lo, v19, v13, vcc_lo
	v_add_co_ci_u32_e32 v21, vcc_lo, 0, v21, vcc_lo
	v_add_nc_u64_e32 v[8:9], v[8:9], v[20:21]
	s_delay_alu instid0(VALU_DEP_1) | instskip(NEXT) | instid1(VALU_DEP_1)
	v_mul_u64_e32 v[12:13], s[14:15], v[8:9]
	v_sub_co_u32 v5, vcc_lo, v14, v12
	v_add_nc_u64_e32 v[14:15], 1, v[8:9]
	s_delay_alu instid0(VALU_DEP_3) | instskip(SKIP_1) | instid1(VALU_DEP_4)
	v_sub_nc_u32_e32 v3, v16, v13
	v_sub_co_ci_u32_e64 v16, null, v16, v13, vcc_lo
	v_sub_co_u32 v11, s0, v5, s14
	s_delay_alu instid0(VALU_DEP_3) | instskip(NEXT) | instid1(VALU_DEP_2)
	v_subrev_co_ci_u32_e64 v3, null, s15, v3, vcc_lo
	v_cmp_le_u32_e32 vcc_lo, s14, v11
	s_delay_alu instid0(VALU_DEP_2) | instskip(SKIP_1) | instid1(VALU_DEP_2)
	v_subrev_co_ci_u32_e64 v3, null, 0, v3, s0
	v_cndmask_b32_e64 v11, 0, -1, vcc_lo
	v_cmp_le_u32_e32 vcc_lo, s15, v3
	v_cndmask_b32_e64 v12, 0, -1, vcc_lo
	v_cmp_le_u32_e32 vcc_lo, s14, v5
	;; [unrolled: 2-line block ×3, first 2 shown]
	v_cndmask_b32_e64 v17, 0, -1, vcc_lo
	v_cmp_eq_u32_e32 vcc_lo, s15, v3
	v_cndmask_b32_e32 v3, v12, v11, vcc_lo
	v_cmp_eq_u32_e32 vcc_lo, s15, v16
	v_add_nc_u64_e32 v[12:13], 2, v[8:9]
	v_cndmask_b32_e32 v5, v17, v5, vcc_lo
	s_delay_alu instid0(VALU_DEP_4) | instskip(NEXT) | instid1(VALU_DEP_2)
	v_cmp_ne_u32_e32 vcc_lo, 0, v3
	v_cmp_ne_u32_e64 s0, 0, v5
	s_delay_alu instid0(VALU_DEP_4) | instskip(NEXT) | instid1(VALU_DEP_1)
	v_dual_cndmask_b32 v3, v15, v13, vcc_lo :: v_dual_cndmask_b32 v5, v14, v12, vcc_lo
	v_dual_cndmask_b32 v3, v9, v3, s0 :: v_dual_cndmask_b32 v5, v8, v5, s0
	s_delay_alu instid0(VALU_DEP_1) | instskip(NEXT) | instid1(VALU_DEP_2)
	v_dual_mov_b32 v11, v10 :: v_dual_bitop2_b32 v9, v3, v10 bitop3:0x14
	v_xor_b32_e32 v8, v5, v10
	s_delay_alu instid0(VALU_DEP_1)
	v_sub_nc_u64_e32 v[10:11], v[8:9], v[10:11]
.LBB11_94:
	s_and_not1_saveexec_b32 s0, s1
	s_cbranch_execz .LBB11_96
; %bb.95:
	v_cvt_f32_u32_e32 v3, s12
	s_sub_co_i32 s1, 0, s12
	v_mov_b32_e32 v11, 0
	s_delay_alu instid0(VALU_DEP_2) | instskip(SKIP_1) | instid1(TRANS32_DEP_1)
	v_rcp_iflag_f32_e32 v3, v3
	v_nop
	v_mul_f32_e32 v3, 0x4f7ffffe, v3
	s_delay_alu instid0(VALU_DEP_1) | instskip(NEXT) | instid1(VALU_DEP_1)
	v_cvt_u32_f32_e32 v3, v3
	v_mul_lo_u32 v5, s1, v3
	s_delay_alu instid0(VALU_DEP_1) | instskip(NEXT) | instid1(VALU_DEP_1)
	v_mul_hi_u32 v5, v3, v5
	v_add_nc_u32_e32 v3, v3, v5
	s_delay_alu instid0(VALU_DEP_1) | instskip(NEXT) | instid1(VALU_DEP_1)
	v_mul_hi_u32 v3, v0, v3
	v_mul_lo_u32 v5, v3, s12
	s_delay_alu instid0(VALU_DEP_1) | instskip(NEXT) | instid1(VALU_DEP_1)
	v_sub_nc_u32_e32 v5, v0, v5
	v_subrev_nc_u32_e32 v9, s12, v5
	v_cmp_le_u32_e32 vcc_lo, s12, v5
	s_delay_alu instid0(VALU_DEP_2) | instskip(NEXT) | instid1(VALU_DEP_1)
	v_dual_cndmask_b32 v5, v5, v9 :: v_dual_add_nc_u32 v8, 1, v3
	v_cndmask_b32_e32 v3, v3, v8, vcc_lo
	s_delay_alu instid0(VALU_DEP_2) | instskip(NEXT) | instid1(VALU_DEP_2)
	v_cmp_le_u32_e32 vcc_lo, s12, v5
	v_add_nc_u32_e32 v8, 1, v3
	s_delay_alu instid0(VALU_DEP_1)
	v_cndmask_b32_e32 v10, v3, v8, vcc_lo
.LBB11_96:
	s_or_b32 exec_lo, exec_lo, s0
	v_mul_u64_e32 v[12:13], s[12:13], v[6:7]
	s_delay_alu instid0(VALU_DEP_2) | instskip(SKIP_1) | instid1(VALU_DEP_2)
	v_min_i64 v[8:9], v[10:11], s[2:3]
	s_mov_b32 s1, 0
	v_add_nc_u64_e32 v[10:11], s[10:11], v[12:13]
	v_cmp_gt_i64_e32 vcc_lo, v[12:13], v[0:1]
	s_delay_alu instid0(VALU_DEP_2) | instskip(SKIP_2) | instid1(SALU_CYCLE_1)
	v_cmp_ge_i64_e64 s0, v[0:1], v[10:11]
	v_mov_b32_e32 v11, s1
	s_or_b32 s0, vcc_lo, s0
	v_cndmask_b32_e64 v10, 0, 1, s0
	s_delay_alu instid0(VALU_DEP_1) | instskip(NEXT) | instid1(VALU_DEP_1)
	v_add_nc_u64_e32 v[6:7], v[6:7], v[10:11]
	v_cmp_le_i64_e32 vcc_lo, v[6:7], v[8:9]
	s_and_b32 exec_lo, exec_lo, vcc_lo
	s_cbranch_execz .LBB11_99
; %bb.97:
	global_load_u16 v10, v2, s[4:5]
	v_mul_u64_e32 v[12:13], s[12:13], v[6:7]
	v_mov_b32_e32 v3, 0
	s_mul_u64 s[2:3], s[12:13], s[18:19]
	s_delay_alu instid0(SALU_CYCLE_1) | instskip(NEXT) | instid1(VALU_DEP_1)
	s_lshl_b64 s[2:3], s[2:3], 1
	v_mov_b32_e32 v5, v3
	s_delay_alu instid0(VALU_DEP_3) | instskip(SKIP_1) | instid1(VALU_DEP_2)
	v_sub_nc_u64_e32 v[0:1], v[0:1], v[12:13]
	v_mul_u64_e32 v[12:13], s[16:17], v[6:7]
	v_mul_u64_e32 v[0:1], s[18:19], v[0:1]
	s_delay_alu instid0(VALU_DEP_2) | instskip(NEXT) | instid1(VALU_DEP_1)
	v_lshlrev_b64_e32 v[12:13], 1, v[12:13]
	v_lshl_add_u64 v[0:1], v[0:1], 1, v[12:13]
	s_delay_alu instid0(VALU_DEP_1) | instskip(SKIP_4) | instid1(SALU_CYCLE_1)
	v_add_nc_u64_e32 v[4:5], v[0:1], v[4:5]
	v_add_nc_u64_e32 v[0:1], s[4:5], v[2:3]
	s_wait_xcnt 0x0
	v_add_nc_u64_e32 v[2:3], -1, v[6:7]
	s_lshl_b64 s[4:5], s[16:17], 1
	s_sub_nc_u64 s[2:3], s[4:5], s[2:3]
	s_delay_alu instid0(VALU_DEP_3)
	v_add_nc_u64_e32 v[4:5], s[6:7], v[4:5]
.LBB11_98:                              ; =>This Inner Loop Header: Depth=1
	global_load_u16 v6, v[4:5], off
	s_wait_loadcnt 0x1
	v_lshlrev_b32_e32 v7, 16, v10
	v_add_nc_u64_e32 v[2:3], 1, v[2:3]
	s_wait_xcnt 0x0
	v_add_nc_u64_e32 v[4:5], s[2:3], v[4:5]
	s_delay_alu instid0(VALU_DEP_2) | instskip(SKIP_3) | instid1(VALU_DEP_1)
	v_cmp_ge_i64_e32 vcc_lo, v[2:3], v[8:9]
	s_or_b32 s1, vcc_lo, s1
	s_wait_loadcnt 0x0
	v_lshlrev_b32_e32 v6, 16, v6
	v_add_f32_e32 v6, v6, v7
	s_delay_alu instid0(VALU_DEP_1) | instskip(SKIP_1) | instid1(VALU_DEP_2)
	v_bfe_u32 v7, v6, 16, 1
	v_cmp_o_f32_e64 s0, v6, v6
	v_add3_u32 v7, v6, v7, 0x7fff
	s_delay_alu instid0(VALU_DEP_1) | instskip(NEXT) | instid1(VALU_DEP_1)
	v_lshrrev_b32_e32 v7, 16, v7
	v_cndmask_b32_e64 v10, 0x7fc0, v7, s0
	global_store_b16 v[0:1], v10, off
	s_wait_xcnt 0x0
	s_and_not1_b32 exec_lo, exec_lo, s1
	s_cbranch_execnz .LBB11_98
.LBB11_99:
	s_endpgm
	.section	.rodata,"a",@progbits
	.p2align	6, 0x0
	.amdhsa_kernel _ZN2at6native12_GLOBAL__N_135_unfold_backward_elementwise_kernelILi256ELi4EZNS1_32_unfold_backward_internal_kernelIN3c108BFloat16EEEvRNS_14TensorIteratorEllllllEUliE_EEviT1_
		.amdhsa_group_segment_fixed_size 0
		.amdhsa_private_segment_fixed_size 0
		.amdhsa_kernarg_size 464
		.amdhsa_user_sgpr_count 2
		.amdhsa_user_sgpr_dispatch_ptr 0
		.amdhsa_user_sgpr_queue_ptr 0
		.amdhsa_user_sgpr_kernarg_segment_ptr 1
		.amdhsa_user_sgpr_dispatch_id 0
		.amdhsa_user_sgpr_kernarg_preload_length 0
		.amdhsa_user_sgpr_kernarg_preload_offset 0
		.amdhsa_user_sgpr_private_segment_size 0
		.amdhsa_wavefront_size32 1
		.amdhsa_uses_dynamic_stack 0
		.amdhsa_enable_private_segment 0
		.amdhsa_system_sgpr_workgroup_id_x 1
		.amdhsa_system_sgpr_workgroup_id_y 0
		.amdhsa_system_sgpr_workgroup_id_z 0
		.amdhsa_system_sgpr_workgroup_info 0
		.amdhsa_system_vgpr_workitem_id 0
		.amdhsa_next_free_vgpr 28
		.amdhsa_next_free_sgpr 56
		.amdhsa_named_barrier_count 0
		.amdhsa_reserve_vcc 1
		.amdhsa_float_round_mode_32 0
		.amdhsa_float_round_mode_16_64 0
		.amdhsa_float_denorm_mode_32 3
		.amdhsa_float_denorm_mode_16_64 3
		.amdhsa_fp16_overflow 0
		.amdhsa_memory_ordered 1
		.amdhsa_forward_progress 1
		.amdhsa_inst_pref_size 78
		.amdhsa_round_robin_scheduling 0
		.amdhsa_exception_fp_ieee_invalid_op 0
		.amdhsa_exception_fp_denorm_src 0
		.amdhsa_exception_fp_ieee_div_zero 0
		.amdhsa_exception_fp_ieee_overflow 0
		.amdhsa_exception_fp_ieee_underflow 0
		.amdhsa_exception_fp_ieee_inexact 0
		.amdhsa_exception_int_div_zero 0
	.end_amdhsa_kernel
	.section	.text._ZN2at6native12_GLOBAL__N_135_unfold_backward_elementwise_kernelILi256ELi4EZNS1_32_unfold_backward_internal_kernelIN3c108BFloat16EEEvRNS_14TensorIteratorEllllllEUliE_EEviT1_,"axG",@progbits,_ZN2at6native12_GLOBAL__N_135_unfold_backward_elementwise_kernelILi256ELi4EZNS1_32_unfold_backward_internal_kernelIN3c108BFloat16EEEvRNS_14TensorIteratorEllllllEUliE_EEviT1_,comdat
.Lfunc_end11:
	.size	_ZN2at6native12_GLOBAL__N_135_unfold_backward_elementwise_kernelILi256ELi4EZNS1_32_unfold_backward_internal_kernelIN3c108BFloat16EEEvRNS_14TensorIteratorEllllllEUliE_EEviT1_, .Lfunc_end11-_ZN2at6native12_GLOBAL__N_135_unfold_backward_elementwise_kernelILi256ELi4EZNS1_32_unfold_backward_internal_kernelIN3c108BFloat16EEEvRNS_14TensorIteratorEllllllEUliE_EEviT1_
                                        ; -- End function
	.set _ZN2at6native12_GLOBAL__N_135_unfold_backward_elementwise_kernelILi256ELi4EZNS1_32_unfold_backward_internal_kernelIN3c108BFloat16EEEvRNS_14TensorIteratorEllllllEUliE_EEviT1_.num_vgpr, 28
	.set _ZN2at6native12_GLOBAL__N_135_unfold_backward_elementwise_kernelILi256ELi4EZNS1_32_unfold_backward_internal_kernelIN3c108BFloat16EEEvRNS_14TensorIteratorEllllllEUliE_EEviT1_.num_agpr, 0
	.set _ZN2at6native12_GLOBAL__N_135_unfold_backward_elementwise_kernelILi256ELi4EZNS1_32_unfold_backward_internal_kernelIN3c108BFloat16EEEvRNS_14TensorIteratorEllllllEUliE_EEviT1_.numbered_sgpr, 56
	.set _ZN2at6native12_GLOBAL__N_135_unfold_backward_elementwise_kernelILi256ELi4EZNS1_32_unfold_backward_internal_kernelIN3c108BFloat16EEEvRNS_14TensorIteratorEllllllEUliE_EEviT1_.num_named_barrier, 0
	.set _ZN2at6native12_GLOBAL__N_135_unfold_backward_elementwise_kernelILi256ELi4EZNS1_32_unfold_backward_internal_kernelIN3c108BFloat16EEEvRNS_14TensorIteratorEllllllEUliE_EEviT1_.private_seg_size, 0
	.set _ZN2at6native12_GLOBAL__N_135_unfold_backward_elementwise_kernelILi256ELi4EZNS1_32_unfold_backward_internal_kernelIN3c108BFloat16EEEvRNS_14TensorIteratorEllllllEUliE_EEviT1_.uses_vcc, 1
	.set _ZN2at6native12_GLOBAL__N_135_unfold_backward_elementwise_kernelILi256ELi4EZNS1_32_unfold_backward_internal_kernelIN3c108BFloat16EEEvRNS_14TensorIteratorEllllllEUliE_EEviT1_.uses_flat_scratch, 0
	.set _ZN2at6native12_GLOBAL__N_135_unfold_backward_elementwise_kernelILi256ELi4EZNS1_32_unfold_backward_internal_kernelIN3c108BFloat16EEEvRNS_14TensorIteratorEllllllEUliE_EEviT1_.has_dyn_sized_stack, 0
	.set _ZN2at6native12_GLOBAL__N_135_unfold_backward_elementwise_kernelILi256ELi4EZNS1_32_unfold_backward_internal_kernelIN3c108BFloat16EEEvRNS_14TensorIteratorEllllllEUliE_EEviT1_.has_recursion, 0
	.set _ZN2at6native12_GLOBAL__N_135_unfold_backward_elementwise_kernelILi256ELi4EZNS1_32_unfold_backward_internal_kernelIN3c108BFloat16EEEvRNS_14TensorIteratorEllllllEUliE_EEviT1_.has_indirect_call, 0
	.section	.AMDGPU.csdata,"",@progbits
; Kernel info:
; codeLenInByte = 9972
; TotalNumSgprs: 58
; NumVgprs: 28
; ScratchSize: 0
; MemoryBound: 0
; FloatMode: 240
; IeeeMode: 1
; LDSByteSize: 0 bytes/workgroup (compile time only)
; SGPRBlocks: 0
; VGPRBlocks: 1
; NumSGPRsForWavesPerEU: 58
; NumVGPRsForWavesPerEU: 28
; NamedBarCnt: 0
; Occupancy: 16
; WaveLimiterHint : 1
; COMPUTE_PGM_RSRC2:SCRATCH_EN: 0
; COMPUTE_PGM_RSRC2:USER_SGPR: 2
; COMPUTE_PGM_RSRC2:TRAP_HANDLER: 0
; COMPUTE_PGM_RSRC2:TGID_X_EN: 1
; COMPUTE_PGM_RSRC2:TGID_Y_EN: 0
; COMPUTE_PGM_RSRC2:TGID_Z_EN: 0
; COMPUTE_PGM_RSRC2:TIDIG_COMP_CNT: 0
	.section	.AMDGPU.gpr_maximums,"",@progbits
	.set amdgpu.max_num_vgpr, 0
	.set amdgpu.max_num_agpr, 0
	.set amdgpu.max_num_sgpr, 0
	.section	.AMDGPU.csdata,"",@progbits
	.type	__hip_cuid_353e80ba05518a49,@object ; @__hip_cuid_353e80ba05518a49
	.section	.bss,"aw",@nobits
	.globl	__hip_cuid_353e80ba05518a49
__hip_cuid_353e80ba05518a49:
	.byte	0                               ; 0x0
	.size	__hip_cuid_353e80ba05518a49, 1

	.ident	"AMD clang version 22.0.0git (https://github.com/RadeonOpenCompute/llvm-project roc-7.2.4 26084 f58b06dce1f9c15707c5f808fd002e18c2accf7e)"
	.section	".note.GNU-stack","",@progbits
	.addrsig
	.addrsig_sym __hip_cuid_353e80ba05518a49
	.amdgpu_metadata
---
amdhsa.kernels:
  - .args:
      - .offset:         0
        .size:           4
        .value_kind:     by_value
      - .offset:         8
        .size:           456
        .value_kind:     by_value
    .group_segment_fixed_size: 0
    .kernarg_segment_align: 8
    .kernarg_segment_size: 464
    .language:       OpenCL C
    .language_version:
      - 2
      - 0
    .max_flat_workgroup_size: 256
    .name:           _ZN2at6native12_GLOBAL__N_135_unfold_backward_elementwise_kernelILi256ELi4EZNS1_32_unfold_backward_internal_kernelIhEEvRNS_14TensorIteratorEllllllEUliE_EEviT1_
    .private_segment_fixed_size: 0
    .sgpr_count:     58
    .sgpr_spill_count: 0
    .symbol:         _ZN2at6native12_GLOBAL__N_135_unfold_backward_elementwise_kernelILi256ELi4EZNS1_32_unfold_backward_internal_kernelIhEEvRNS_14TensorIteratorEllllllEUliE_EEviT1_.kd
    .uniform_work_group_size: 1
    .uses_dynamic_stack: false
    .vgpr_count:     28
    .vgpr_spill_count: 0
    .wavefront_size: 32
  - .args:
      - .offset:         0
        .size:           4
        .value_kind:     by_value
      - .offset:         8
        .size:           456
        .value_kind:     by_value
    .group_segment_fixed_size: 0
    .kernarg_segment_align: 8
    .kernarg_segment_size: 464
    .language:       OpenCL C
    .language_version:
      - 2
      - 0
    .max_flat_workgroup_size: 256
    .name:           _ZN2at6native12_GLOBAL__N_135_unfold_backward_elementwise_kernelILi256ELi4EZNS1_32_unfold_backward_internal_kernelIaEEvRNS_14TensorIteratorEllllllEUliE_EEviT1_
    .private_segment_fixed_size: 0
    .sgpr_count:     58
    .sgpr_spill_count: 0
    .symbol:         _ZN2at6native12_GLOBAL__N_135_unfold_backward_elementwise_kernelILi256ELi4EZNS1_32_unfold_backward_internal_kernelIaEEvRNS_14TensorIteratorEllllllEUliE_EEviT1_.kd
    .uniform_work_group_size: 1
    .uses_dynamic_stack: false
    .vgpr_count:     28
    .vgpr_spill_count: 0
    .wavefront_size: 32
  - .args:
      - .offset:         0
        .size:           4
        .value_kind:     by_value
      - .offset:         8
        .size:           456
        .value_kind:     by_value
    .group_segment_fixed_size: 0
    .kernarg_segment_align: 8
    .kernarg_segment_size: 464
    .language:       OpenCL C
    .language_version:
      - 2
      - 0
    .max_flat_workgroup_size: 256
    .name:           _ZN2at6native12_GLOBAL__N_135_unfold_backward_elementwise_kernelILi256ELi4EZNS1_32_unfold_backward_internal_kernelIiEEvRNS_14TensorIteratorEllllllEUliE_EEviT1_
    .private_segment_fixed_size: 0
    .sgpr_count:     58
    .sgpr_spill_count: 0
    .symbol:         _ZN2at6native12_GLOBAL__N_135_unfold_backward_elementwise_kernelILi256ELi4EZNS1_32_unfold_backward_internal_kernelIiEEvRNS_14TensorIteratorEllllllEUliE_EEviT1_.kd
    .uniform_work_group_size: 1
    .uses_dynamic_stack: false
    .vgpr_count:     28
    .vgpr_spill_count: 0
    .wavefront_size: 32
  - .args:
      - .offset:         0
        .size:           4
        .value_kind:     by_value
      - .offset:         8
        .size:           456
        .value_kind:     by_value
    .group_segment_fixed_size: 0
    .kernarg_segment_align: 8
    .kernarg_segment_size: 464
    .language:       OpenCL C
    .language_version:
      - 2
      - 0
    .max_flat_workgroup_size: 256
    .name:           _ZN2at6native12_GLOBAL__N_135_unfold_backward_elementwise_kernelILi256ELi4EZNS1_32_unfold_backward_internal_kernelIlEEvRNS_14TensorIteratorEllllllEUliE_EEviT1_
    .private_segment_fixed_size: 0
    .sgpr_count:     58
    .sgpr_spill_count: 0
    .symbol:         _ZN2at6native12_GLOBAL__N_135_unfold_backward_elementwise_kernelILi256ELi4EZNS1_32_unfold_backward_internal_kernelIlEEvRNS_14TensorIteratorEllllllEUliE_EEviT1_.kd
    .uniform_work_group_size: 1
    .uses_dynamic_stack: false
    .vgpr_count:     28
    .vgpr_spill_count: 0
    .wavefront_size: 32
  - .args:
      - .offset:         0
        .size:           4
        .value_kind:     by_value
      - .offset:         8
        .size:           456
        .value_kind:     by_value
    .group_segment_fixed_size: 0
    .kernarg_segment_align: 8
    .kernarg_segment_size: 464
    .language:       OpenCL C
    .language_version:
      - 2
      - 0
    .max_flat_workgroup_size: 256
    .name:           _ZN2at6native12_GLOBAL__N_135_unfold_backward_elementwise_kernelILi256ELi4EZNS1_32_unfold_backward_internal_kernelIsEEvRNS_14TensorIteratorEllllllEUliE_EEviT1_
    .private_segment_fixed_size: 0
    .sgpr_count:     58
    .sgpr_spill_count: 0
    .symbol:         _ZN2at6native12_GLOBAL__N_135_unfold_backward_elementwise_kernelILi256ELi4EZNS1_32_unfold_backward_internal_kernelIsEEvRNS_14TensorIteratorEllllllEUliE_EEviT1_.kd
    .uniform_work_group_size: 1
    .uses_dynamic_stack: false
    .vgpr_count:     28
    .vgpr_spill_count: 0
    .wavefront_size: 32
  - .args:
      - .offset:         0
        .size:           4
        .value_kind:     by_value
      - .offset:         8
        .size:           456
        .value_kind:     by_value
    .group_segment_fixed_size: 0
    .kernarg_segment_align: 8
    .kernarg_segment_size: 464
    .language:       OpenCL C
    .language_version:
      - 2
      - 0
    .max_flat_workgroup_size: 256
    .name:           _ZN2at6native12_GLOBAL__N_135_unfold_backward_elementwise_kernelILi256ELi4EZNS1_32_unfold_backward_internal_kernelIdEEvRNS_14TensorIteratorEllllllEUliE_EEviT1_
    .private_segment_fixed_size: 0
    .sgpr_count:     58
    .sgpr_spill_count: 0
    .symbol:         _ZN2at6native12_GLOBAL__N_135_unfold_backward_elementwise_kernelILi256ELi4EZNS1_32_unfold_backward_internal_kernelIdEEvRNS_14TensorIteratorEllllllEUliE_EEviT1_.kd
    .uniform_work_group_size: 1
    .uses_dynamic_stack: false
    .vgpr_count:     28
    .vgpr_spill_count: 0
    .wavefront_size: 32
  - .args:
      - .offset:         0
        .size:           4
        .value_kind:     by_value
      - .offset:         8
        .size:           456
        .value_kind:     by_value
    .group_segment_fixed_size: 0
    .kernarg_segment_align: 8
    .kernarg_segment_size: 464
    .language:       OpenCL C
    .language_version:
      - 2
      - 0
    .max_flat_workgroup_size: 256
    .name:           _ZN2at6native12_GLOBAL__N_135_unfold_backward_elementwise_kernelILi256ELi4EZNS1_32_unfold_backward_internal_kernelIfEEvRNS_14TensorIteratorEllllllEUliE_EEviT1_
    .private_segment_fixed_size: 0
    .sgpr_count:     58
    .sgpr_spill_count: 0
    .symbol:         _ZN2at6native12_GLOBAL__N_135_unfold_backward_elementwise_kernelILi256ELi4EZNS1_32_unfold_backward_internal_kernelIfEEvRNS_14TensorIteratorEllllllEUliE_EEviT1_.kd
    .uniform_work_group_size: 1
    .uses_dynamic_stack: false
    .vgpr_count:     28
    .vgpr_spill_count: 0
    .wavefront_size: 32
  - .args:
      - .offset:         0
        .size:           4
        .value_kind:     by_value
      - .offset:         8
        .size:           456
        .value_kind:     by_value
    .group_segment_fixed_size: 0
    .kernarg_segment_align: 8
    .kernarg_segment_size: 464
    .language:       OpenCL C
    .language_version:
      - 2
      - 0
    .max_flat_workgroup_size: 256
    .name:           _ZN2at6native12_GLOBAL__N_135_unfold_backward_elementwise_kernelILi256ELi4EZNS1_32_unfold_backward_internal_kernelIN3c107complexIdEEEEvRNS_14TensorIteratorEllllllEUliE_EEviT1_
    .private_segment_fixed_size: 0
    .sgpr_count:     58
    .sgpr_spill_count: 0
    .symbol:         _ZN2at6native12_GLOBAL__N_135_unfold_backward_elementwise_kernelILi256ELi4EZNS1_32_unfold_backward_internal_kernelIN3c107complexIdEEEEvRNS_14TensorIteratorEllllllEUliE_EEviT1_.kd
    .uniform_work_group_size: 1
    .uses_dynamic_stack: false
    .vgpr_count:     28
    .vgpr_spill_count: 0
    .wavefront_size: 32
  - .args:
      - .offset:         0
        .size:           4
        .value_kind:     by_value
      - .offset:         8
        .size:           456
        .value_kind:     by_value
    .group_segment_fixed_size: 0
    .kernarg_segment_align: 8
    .kernarg_segment_size: 464
    .language:       OpenCL C
    .language_version:
      - 2
      - 0
    .max_flat_workgroup_size: 256
    .name:           _ZN2at6native12_GLOBAL__N_135_unfold_backward_elementwise_kernelILi256ELi4EZNS1_32_unfold_backward_internal_kernelIN3c107complexIfEEEEvRNS_14TensorIteratorEllllllEUliE_EEviT1_
    .private_segment_fixed_size: 0
    .sgpr_count:     58
    .sgpr_spill_count: 0
    .symbol:         _ZN2at6native12_GLOBAL__N_135_unfold_backward_elementwise_kernelILi256ELi4EZNS1_32_unfold_backward_internal_kernelIN3c107complexIfEEEEvRNS_14TensorIteratorEllllllEUliE_EEviT1_.kd
    .uniform_work_group_size: 1
    .uses_dynamic_stack: false
    .vgpr_count:     28
    .vgpr_spill_count: 0
    .wavefront_size: 32
  - .args:
      - .offset:         0
        .size:           4
        .value_kind:     by_value
      - .offset:         8
        .size:           456
        .value_kind:     by_value
    .group_segment_fixed_size: 0
    .kernarg_segment_align: 8
    .kernarg_segment_size: 464
    .language:       OpenCL C
    .language_version:
      - 2
      - 0
    .max_flat_workgroup_size: 256
    .name:           _ZN2at6native12_GLOBAL__N_135_unfold_backward_elementwise_kernelILi256ELi4EZNS1_32_unfold_backward_internal_kernelIN3c104HalfEEEvRNS_14TensorIteratorEllllllEUliE_EEviT1_
    .private_segment_fixed_size: 0
    .sgpr_count:     58
    .sgpr_spill_count: 0
    .symbol:         _ZN2at6native12_GLOBAL__N_135_unfold_backward_elementwise_kernelILi256ELi4EZNS1_32_unfold_backward_internal_kernelIN3c104HalfEEEvRNS_14TensorIteratorEllllllEUliE_EEviT1_.kd
    .uniform_work_group_size: 1
    .uses_dynamic_stack: false
    .vgpr_count:     28
    .vgpr_spill_count: 0
    .wavefront_size: 32
  - .args:
      - .offset:         0
        .size:           4
        .value_kind:     by_value
      - .offset:         8
        .size:           456
        .value_kind:     by_value
    .group_segment_fixed_size: 0
    .kernarg_segment_align: 8
    .kernarg_segment_size: 464
    .language:       OpenCL C
    .language_version:
      - 2
      - 0
    .max_flat_workgroup_size: 256
    .name:           _ZN2at6native12_GLOBAL__N_135_unfold_backward_elementwise_kernelILi256ELi4EZNS1_32_unfold_backward_internal_kernelIbEEvRNS_14TensorIteratorEllllllEUliE_EEviT1_
    .private_segment_fixed_size: 0
    .sgpr_count:     58
    .sgpr_spill_count: 0
    .symbol:         _ZN2at6native12_GLOBAL__N_135_unfold_backward_elementwise_kernelILi256ELi4EZNS1_32_unfold_backward_internal_kernelIbEEvRNS_14TensorIteratorEllllllEUliE_EEviT1_.kd
    .uniform_work_group_size: 1
    .uses_dynamic_stack: false
    .vgpr_count:     28
    .vgpr_spill_count: 0
    .wavefront_size: 32
  - .args:
      - .offset:         0
        .size:           4
        .value_kind:     by_value
      - .offset:         8
        .size:           456
        .value_kind:     by_value
    .group_segment_fixed_size: 0
    .kernarg_segment_align: 8
    .kernarg_segment_size: 464
    .language:       OpenCL C
    .language_version:
      - 2
      - 0
    .max_flat_workgroup_size: 256
    .name:           _ZN2at6native12_GLOBAL__N_135_unfold_backward_elementwise_kernelILi256ELi4EZNS1_32_unfold_backward_internal_kernelIN3c108BFloat16EEEvRNS_14TensorIteratorEllllllEUliE_EEviT1_
    .private_segment_fixed_size: 0
    .sgpr_count:     58
    .sgpr_spill_count: 0
    .symbol:         _ZN2at6native12_GLOBAL__N_135_unfold_backward_elementwise_kernelILi256ELi4EZNS1_32_unfold_backward_internal_kernelIN3c108BFloat16EEEvRNS_14TensorIteratorEllllllEUliE_EEviT1_.kd
    .uniform_work_group_size: 1
    .uses_dynamic_stack: false
    .vgpr_count:     28
    .vgpr_spill_count: 0
    .wavefront_size: 32
amdhsa.target:   amdgcn-amd-amdhsa--gfx1250
amdhsa.version:
  - 1
  - 2
...

	.end_amdgpu_metadata
